;; amdgpu-corpus repo=ROCm/rocFFT kind=compiled arch=gfx950 opt=O3
	.text
	.amdgcn_target "amdgcn-amd-amdhsa--gfx950"
	.amdhsa_code_object_version 6
	.protected	bluestein_single_back_len1904_dim1_dp_op_CI_CI ; -- Begin function bluestein_single_back_len1904_dim1_dp_op_CI_CI
	.globl	bluestein_single_back_len1904_dim1_dp_op_CI_CI
	.p2align	8
	.type	bluestein_single_back_len1904_dim1_dp_op_CI_CI,@function
bluestein_single_back_len1904_dim1_dp_op_CI_CI: ; @bluestein_single_back_len1904_dim1_dp_op_CI_CI
; %bb.0:
	s_load_dwordx4 s[8:11], s[0:1], 0x28
	v_mul_u32_u24_e32 v1, 0x227, v0
	v_mov_b32_e32 v255, 0
	v_add_u32_sdwa v2, s2, v1 dst_sel:DWORD dst_unused:UNUSED_PAD src0_sel:DWORD src1_sel:WORD_1
	v_mov_b32_e32 v3, v255
	v_accvgpr_write_b32 a0, v2
	s_waitcnt lgkmcnt(0)
	v_cmp_gt_u64_e32 vcc, s[8:9], v[2:3]
	s_and_saveexec_b64 s[2:3], vcc
	s_cbranch_execz .LBB0_23
; %bb.1:
	s_load_dwordx2 s[8:9], s[0:1], 0x0
	s_load_dwordx2 s[12:13], s[0:1], 0x38
	s_movk_i32 s2, 0x77
	v_mul_lo_u16_sdwa v1, v1, s2 dst_sel:DWORD dst_unused:UNUSED_PAD src0_sel:WORD_1 src1_sel:DWORD
	v_sub_u16_e32 v254, v0, v1
	s_movk_i32 s2, 0x70
	v_cmp_gt_u16_e32 vcc, s2, v254
	v_lshlrev_b32_e32 v76, 4, v254
	s_and_saveexec_b64 s[14:15], vcc
	s_cbranch_execz .LBB0_3
; %bb.2:
	s_load_dwordx2 s[2:3], s[0:1], 0x18
	v_accvgpr_read_b32 v10, a0
	v_mov_b32_e32 v77, 0
	s_waitcnt lgkmcnt(0)
	v_lshl_add_u64 v[74:75], s[8:9], 0, v[76:77]
	v_mov_b32_e32 v0, s10
	s_load_dwordx4 s[4:7], s[2:3], 0x0
	v_mov_b32_e32 v1, s11
	v_or_b32_e32 v142, 0x700, v254
	v_or_b32_e32 v21, 0x380, v254
	v_lshlrev_b32_e32 v56, 4, v142
	s_waitcnt lgkmcnt(0)
	v_mad_u64_u32 v[2:3], s[2:3], s6, v10, 0
	v_mad_u64_u32 v[4:5], s[2:3], s4, v254, 0
	v_mov_b32_e32 v6, v3
	v_mov_b32_e32 v8, v5
	v_mad_u64_u32 v[6:7], s[2:3], s7, v10, v[6:7]
	v_mov_b32_e32 v3, v6
	v_mad_u64_u32 v[6:7], s[2:3], s5, v254, v[8:9]
	s_movk_i32 s2, 0x1000
	s_nop 0
	v_add_co_u32_e64 v50, s[2:3], s2, v74
	s_movk_i32 s6, 0x2000
	s_nop 0
	v_addc_co_u32_e64 v51, s[2:3], 0, v75, s[2:3]
	v_add_co_u32_e64 v52, s[2:3], s6, v74
	s_movk_i32 s7, 0x3000
	s_nop 0
	v_addc_co_u32_e64 v53, s[2:3], 0, v75, s[2:3]
	v_mov_b32_e32 v5, v6
	v_lshl_add_u64 v[16:17], v[2:3], 4, v[0:1]
	v_add_co_u32_e64 v54, s[2:3], s7, v74
	v_lshl_add_u64 v[18:19], v[4:5], 4, v[16:17]
	global_load_dwordx4 v[0:3], v76, s[8:9]
	global_load_dwordx4 v[4:7], v[18:19], off
	v_mov_b32_e32 v20, 0x700
	global_load_dwordx4 v[8:11], v76, s[8:9] offset:1792
	global_load_dwordx4 v[12:15], v76, s[8:9] offset:3584
	v_addc_co_u32_e64 v55, s[2:3], 0, v75, s[2:3]
	global_load_dwordx4 v[22:25], v56, s[8:9]
	global_load_dwordx4 v[26:29], v[50:51], off offset:1280
	global_load_dwordx4 v[30:33], v[50:51], off offset:3072
	;; [unrolled: 1-line block ×6, first 2 shown]
	v_mad_u64_u32 v[50:51], s[2:3], s4, v21, 0
	s_mul_i32 s6, s5, 0x700
	v_mov_b32_e32 v52, v51
	v_mad_u64_u32 v[18:19], s[2:3], s4, v20, v[18:19]
	v_mad_u64_u32 v[52:53], s[2:3], s5, v21, v[52:53]
	v_add_u32_e32 v19, s6, v19
	v_mov_b32_e32 v51, v52
	v_mad_u64_u32 v[62:63], s[2:3], s4, v20, v[18:19]
	v_lshl_add_u64 v[50:51], v[50:51], 4, v[16:17]
	v_add_u32_e32 v63, s6, v63
	global_load_dwordx4 v[50:53], v[50:51], off
	s_nop 0
	global_load_dwordx4 v[54:57], v[18:19], off
	global_load_dwordx4 v[58:61], v[62:63], off
	v_mad_u64_u32 v[18:19], s[2:3], s4, v20, v[62:63]
	v_add_u32_e32 v19, s6, v19
	v_mad_u64_u32 v[70:71], s[2:3], s4, v20, v[18:19]
	v_add_u32_e32 v71, s6, v71
	global_load_dwordx4 v[62:65], v[18:19], off
	global_load_dwordx4 v[66:69], v[70:71], off
	v_mad_u64_u32 v[18:19], s[2:3], s4, v20, v[70:71]
	v_add_u32_e32 v19, s6, v19
	global_load_dwordx4 v[70:73], v[18:19], off
	v_mad_u64_u32 v[18:19], s[2:3], s4, v20, v[18:19]
	v_add_u32_e32 v19, s6, v19
	global_load_dwordx4 v[78:81], v[18:19], off
	v_mad_u64_u32 v[18:19], s[2:3], s4, v20, v[18:19]
	v_mov_b32_e32 v86, 0xe00
	v_add_u32_e32 v19, s6, v19
	s_mul_i32 s7, s5, 0xe00
	global_load_dwordx4 v[82:85], v[18:19], off
	v_mad_u64_u32 v[18:19], s[2:3], s4, v86, v[18:19]
	v_add_u32_e32 v19, s7, v19
	v_mad_u64_u32 v[102:103], s[2:3], s4, v20, v[18:19]
	s_movk_i32 s2, 0x4000
	v_add_u32_e32 v103, s6, v103
	v_add_co_u32_e64 v118, s[2:3], s2, v74
	v_lshlrev_b32_e32 v77, 4, v21
	s_nop 0
	v_addc_co_u32_e64 v119, s[2:3], 0, v75, s[2:3]
	v_mad_u64_u32 v[106:107], s[2:3], s4, v20, v[102:103]
	v_add_u32_e32 v107, s6, v107
	global_load_dwordx4 v[86:89], v[18:19], off
	global_load_dwordx4 v[90:93], v[102:103], off
	global_load_dwordx4 v[94:97], v77, s[8:9]
	global_load_dwordx4 v[98:101], v[118:119], off offset:1536
	v_mad_u64_u32 v[120:121], s[2:3], s4, v20, v[106:107]
	s_movk_i32 s2, 0x5000
	v_add_u32_e32 v121, s6, v121
	v_add_co_u32_e64 v122, s[2:3], s2, v74
	global_load_dwordx4 v[102:105], v[106:107], off
	s_nop 0
	v_addc_co_u32_e64 v123, s[2:3], 0, v75, s[2:3]
	v_mad_u64_u32 v[126:127], s[2:3], s4, v20, v[120:121]
	v_add_u32_e32 v127, s6, v127
	v_mad_u64_u32 v[134:135], s[2:3], s4, v20, v[126:127]
	global_load_dwordx4 v[106:109], v[120:121], off
	global_load_dwordx4 v[110:113], v[118:119], off offset:3328
	global_load_dwordx4 v[114:117], v[122:123], off offset:1024
	s_movk_i32 s2, 0x6000
	v_add_u32_e32 v135, s6, v135
	v_add_co_u32_e64 v74, s[2:3], s2, v74
	global_load_dwordx4 v[118:121], v[126:127], off
	s_nop 0
	global_load_dwordx4 v[122:125], v[122:123], off offset:2816
	v_addc_co_u32_e64 v75, s[2:3], 0, v75, s[2:3]
	v_mad_u64_u32 v[20:21], s[2:3], s4, v20, v[134:135]
	v_add_u32_e32 v21, s6, v21
	global_load_dwordx4 v[126:129], v[134:135], off
	global_load_dwordx4 v[130:133], v[74:75], off offset:512
	s_nop 0
	global_load_dwordx4 v[134:137], v[20:21], off
	global_load_dwordx4 v[138:141], v[74:75], off offset:2304
	v_mad_u64_u32 v[20:21], s[2:3], s4, v142, 0
	v_mov_b32_e32 v74, v21
	v_mad_u64_u32 v[74:75], s[2:3], s5, v142, v[74:75]
	v_mov_b32_e32 v21, v74
	v_lshl_add_u64 v[16:17], v[20:21], 4, v[16:17]
	global_load_dwordx4 v[142:145], v[16:17], off
	s_waitcnt vmcnt(32)
	v_mul_f64 v[18:19], v[6:7], v[2:3]
	v_mul_f64 v[2:3], v[4:5], v[2:3]
	v_fmac_f64_e32 v[18:19], v[4:5], v[0:1]
	v_fma_f64 v[20:21], v[6:7], v[0:1], -v[2:3]
	s_waitcnt vmcnt(21)
	v_mul_f64 v[0:1], v[56:57], v[10:11]
	v_mul_f64 v[2:3], v[54:55], v[10:11]
	v_fmac_f64_e32 v[0:1], v[54:55], v[8:9]
	v_fma_f64 v[2:3], v[56:57], v[8:9], -v[2:3]
	ds_write_b128 v76, v[0:3] offset:1792
	s_waitcnt vmcnt(20)
	v_mul_f64 v[0:1], v[60:61], v[14:15]
	v_mul_f64 v[2:3], v[58:59], v[14:15]
	v_fmac_f64_e32 v[0:1], v[58:59], v[12:13]
	v_fma_f64 v[2:3], v[60:61], v[12:13], -v[2:3]
	ds_write_b128 v76, v[0:3] offset:3584
	s_waitcnt vmcnt(19)
	v_mul_f64 v[0:1], v[64:65], v[28:29]
	v_mul_f64 v[2:3], v[62:63], v[28:29]
	v_fmac_f64_e32 v[0:1], v[62:63], v[26:27]
	v_fma_f64 v[2:3], v[64:65], v[26:27], -v[2:3]
	ds_write_b128 v76, v[0:3] offset:5376
	s_waitcnt vmcnt(18)
	v_mul_f64 v[0:1], v[68:69], v[32:33]
	v_mul_f64 v[2:3], v[66:67], v[32:33]
	v_fmac_f64_e32 v[0:1], v[66:67], v[30:31]
	v_fma_f64 v[2:3], v[68:69], v[30:31], -v[2:3]
	ds_write_b128 v76, v[0:3] offset:7168
	s_waitcnt vmcnt(17)
	v_mul_f64 v[0:1], v[72:73], v[36:37]
	v_mul_f64 v[2:3], v[70:71], v[36:37]
	v_fmac_f64_e32 v[0:1], v[70:71], v[34:35]
	v_fma_f64 v[2:3], v[72:73], v[34:35], -v[2:3]
	ds_write_b128 v76, v[0:3] offset:8960
	s_waitcnt vmcnt(16)
	v_mul_f64 v[0:1], v[80:81], v[40:41]
	v_mul_f64 v[2:3], v[78:79], v[40:41]
	v_fmac_f64_e32 v[0:1], v[78:79], v[38:39]
	v_fma_f64 v[2:3], v[80:81], v[38:39], -v[2:3]
	ds_write_b128 v76, v[0:3] offset:10752
	s_waitcnt vmcnt(15)
	v_mul_f64 v[0:1], v[84:85], v[44:45]
	v_mul_f64 v[2:3], v[82:83], v[44:45]
	v_fmac_f64_e32 v[0:1], v[82:83], v[42:43]
	v_fma_f64 v[2:3], v[84:85], v[42:43], -v[2:3]
	ds_write_b128 v76, v[0:3] offset:12544
	ds_write_b128 v76, v[18:21]
	s_waitcnt vmcnt(12)
	v_mul_f64 v[0:1], v[52:53], v[96:97]
	v_mul_f64 v[2:3], v[50:51], v[96:97]
	v_fmac_f64_e32 v[0:1], v[50:51], v[94:95]
	v_fma_f64 v[2:3], v[52:53], v[94:95], -v[2:3]
	ds_write_b128 v76, v[0:3] offset:14336
	v_mul_f64 v[0:1], v[88:89], v[48:49]
	v_mul_f64 v[2:3], v[86:87], v[48:49]
	v_fmac_f64_e32 v[0:1], v[86:87], v[46:47]
	v_fma_f64 v[2:3], v[88:89], v[46:47], -v[2:3]
	ds_write_b128 v76, v[0:3] offset:16128
	s_waitcnt vmcnt(11)
	v_mul_f64 v[0:1], v[92:93], v[100:101]
	v_mul_f64 v[2:3], v[90:91], v[100:101]
	v_fmac_f64_e32 v[0:1], v[90:91], v[98:99]
	v_fma_f64 v[2:3], v[92:93], v[98:99], -v[2:3]
	ds_write_b128 v76, v[0:3] offset:17920
	s_waitcnt vmcnt(8)
	v_mul_f64 v[0:1], v[104:105], v[112:113]
	v_mul_f64 v[2:3], v[102:103], v[112:113]
	v_fmac_f64_e32 v[0:1], v[102:103], v[110:111]
	v_fma_f64 v[2:3], v[104:105], v[110:111], -v[2:3]
	ds_write_b128 v76, v[0:3] offset:19712
	s_waitcnt vmcnt(7)
	v_mul_f64 v[0:1], v[108:109], v[116:117]
	v_mul_f64 v[2:3], v[106:107], v[116:117]
	v_fmac_f64_e32 v[0:1], v[106:107], v[114:115]
	v_fma_f64 v[2:3], v[108:109], v[114:115], -v[2:3]
	ds_write_b128 v76, v[0:3] offset:21504
	s_waitcnt vmcnt(5)
	v_mul_f64 v[0:1], v[120:121], v[124:125]
	v_mul_f64 v[2:3], v[118:119], v[124:125]
	v_fmac_f64_e32 v[0:1], v[118:119], v[122:123]
	v_fma_f64 v[2:3], v[120:121], v[122:123], -v[2:3]
	ds_write_b128 v76, v[0:3] offset:23296
	s_waitcnt vmcnt(3)
	v_mul_f64 v[0:1], v[128:129], v[132:133]
	v_mul_f64 v[2:3], v[126:127], v[132:133]
	v_fmac_f64_e32 v[0:1], v[126:127], v[130:131]
	v_fma_f64 v[2:3], v[128:129], v[130:131], -v[2:3]
	ds_write_b128 v76, v[0:3] offset:25088
	s_waitcnt vmcnt(1)
	v_mul_f64 v[0:1], v[136:137], v[140:141]
	v_mul_f64 v[2:3], v[134:135], v[140:141]
	v_fmac_f64_e32 v[0:1], v[134:135], v[138:139]
	v_fma_f64 v[2:3], v[136:137], v[138:139], -v[2:3]
	ds_write_b128 v76, v[0:3] offset:26880
	s_waitcnt vmcnt(0)
	v_mul_f64 v[0:1], v[144:145], v[24:25]
	v_mul_f64 v[2:3], v[142:143], v[24:25]
	v_fmac_f64_e32 v[0:1], v[142:143], v[22:23]
	v_fma_f64 v[2:3], v[144:145], v[22:23], -v[2:3]
	ds_write_b128 v76, v[0:3] offset:28672
.LBB0_3:
	s_or_b64 exec, exec, s[14:15]
	s_load_dwordx2 s[2:3], s[0:1], 0x20
	s_load_dwordx2 s[10:11], s[0:1], 0x8
	s_waitcnt lgkmcnt(0)
	s_barrier
	s_waitcnt lgkmcnt(0)
                                        ; implicit-def: $vgpr0_vgpr1
                                        ; implicit-def: $vgpr4_vgpr5
                                        ; implicit-def: $vgpr12_vgpr13
                                        ; implicit-def: $vgpr20_vgpr21
                                        ; implicit-def: $vgpr32_vgpr33
                                        ; implicit-def: $vgpr40_vgpr41
                                        ; implicit-def: $vgpr48_vgpr49
                                        ; implicit-def: $vgpr60_vgpr61
                                        ; implicit-def: $vgpr64_vgpr65
                                        ; implicit-def: $vgpr56_vgpr57
                                        ; implicit-def: $vgpr52_vgpr53
                                        ; implicit-def: $vgpr44_vgpr45
                                        ; implicit-def: $vgpr36_vgpr37
                                        ; implicit-def: $vgpr28_vgpr29
                                        ; implicit-def: $vgpr24_vgpr25
                                        ; implicit-def: $vgpr16_vgpr17
                                        ; implicit-def: $vgpr8_vgpr9
	s_and_saveexec_b64 s[0:1], vcc
	s_cbranch_execz .LBB0_5
; %bb.4:
	ds_read_b128 v[0:3], v76
	ds_read_b128 v[8:11], v76 offset:1792
	ds_read_b128 v[16:19], v76 offset:3584
	;; [unrolled: 1-line block ×16, first 2 shown]
.LBB0_5:
	s_or_b64 exec, exec, s[0:1]
	s_mov_b32 s24, 0x5d8e7cdc
	s_waitcnt lgkmcnt(0)
	v_add_f64 v[142:143], v[10:11], -v[66:67]
	s_mov_b32 s4, 0x370991
	s_mov_b32 s25, 0xbfd71e95
	;; [unrolled: 1-line block ×3, first 2 shown]
	v_add_f64 v[124:125], v[64:65], v[8:9]
	v_add_f64 v[128:129], v[8:9], -v[64:65]
	s_mov_b32 s5, 0x3fedd6d0
	v_mul_f64 v[78:79], v[142:143], s[24:25]
	v_add_f64 v[154:155], v[18:19], -v[62:63]
	s_mov_b32 s6, 0x75d4884
	s_mov_b32 s15, 0xbfe58eea
	v_add_f64 v[162:163], v[66:67], v[10:11]
	v_mul_f64 v[120:121], v[128:129], s[24:25]
	v_fma_f64 v[68:69], s[4:5], v[124:125], v[78:79]
	v_add_f64 v[132:133], v[60:61], v[16:17]
	v_add_f64 v[138:139], v[16:17], -v[60:61]
	s_mov_b32 s7, 0x3fe7a5f6
	v_mul_f64 v[122:123], v[154:155], s[14:15]
	s_mov_b32 s34, 0x7c9e640b
	v_add_f64 v[68:69], v[0:1], v[68:69]
	v_fma_f64 v[70:71], v[162:163], s[4:5], -v[120:121]
	v_add_f64 v[174:175], v[62:63], v[18:19]
	v_mul_f64 v[126:127], v[138:139], s[14:15]
	v_fma_f64 v[72:73], s[6:7], v[132:133], v[122:123]
	v_add_f64 v[166:167], v[6:7], -v[58:59]
	s_mov_b32 s16, 0x2b2883cd
	s_mov_b32 s35, 0xbfeca52d
	v_add_f64 v[70:71], v[2:3], v[70:71]
	v_add_f64 v[68:69], v[72:73], v[68:69]
	v_fma_f64 v[72:73], v[174:175], s[6:7], -v[126:127]
	v_add_f64 v[140:141], v[4:5], v[56:57]
	v_add_f64 v[150:151], v[4:5], -v[56:57]
	s_mov_b32 s17, 0x3fdc86fa
	v_mul_f64 v[130:131], v[166:167], s[34:35]
	s_mov_b32 s20, 0xeb564b22
	v_add_f64 v[70:71], v[72:73], v[70:71]
	v_add_f64 v[186:187], v[6:7], v[58:59]
	v_mul_f64 v[134:135], v[150:151], s[34:35]
	v_fma_f64 v[72:73], s[16:17], v[140:141], v[130:131]
	v_add_f64 v[180:181], v[14:15], -v[54:55]
	s_mov_b32 s18, 0x3259b75e
	s_mov_b32 s21, 0xbfefdd0d
	v_add_f64 v[68:69], v[72:73], v[68:69]
	v_fma_f64 v[72:73], v[186:187], s[16:17], -v[134:135]
	v_add_f64 v[148:149], v[12:13], v[52:53]
	v_add_f64 v[160:161], v[12:13], -v[52:53]
	s_mov_b32 s19, 0x3fb79ee6
	v_mul_f64 v[136:137], v[180:181], s[20:21]
	s_mov_b32 s38, 0x923c349f
	v_add_f64 v[70:71], v[72:73], v[70:71]
	v_add_f64 v[200:201], v[14:15], v[54:55]
	v_mul_f64 v[144:145], v[160:161], s[20:21]
	v_fma_f64 v[72:73], s[18:19], v[148:149], v[136:137]
	v_add_f64 v[194:195], v[26:27], -v[50:51]
	s_mov_b32 s22, 0xc61f0d01
	s_mov_b32 s39, 0xbfeec746
	;; [unrolled: 14-line block ×5, first 2 shown]
	v_add_f64 v[68:69], v[72:73], v[68:69]
	v_fma_f64 v[72:73], v[202:203], s[30:31], -v[176:177]
	v_add_f64 v[192:193], v[32:33], v[36:37]
	s_mov_b32 s37, 0xbfef7484
	v_mul_f64 v[178:179], v[214:215], s[40:41]
	v_add_f64 v[212:213], v[32:33], -v[36:37]
	v_add_f64 v[70:71], v[72:73], v[70:71]
	v_fma_f64 v[72:73], s[36:37], v[192:193], v[178:179]
	v_add_f64 v[208:209], v[34:35], v[38:39]
	v_mul_f64 v[196:197], v[212:213], s[40:41]
	v_add_f64 v[92:93], v[72:73], v[68:69]
	v_fma_f64 v[68:69], v[208:209], s[36:37], -v[196:197]
	v_add_f64 v[94:95], v[68:69], v[70:71]
	s_barrier
	s_and_saveexec_b64 s[0:1], vcc
	s_cbranch_execz .LBB0_7
; %bb.6:
	v_mul_f64 v[104:105], v[162:163], s[36:37]
	s_mov_b32 s55, 0x3fc7851a
	s_mov_b32 s54, s40
	v_mul_f64 v[100:101], v[174:175], s[4:5]
	v_fma_f64 v[106:107], s[54:55], v[128:129], v[104:105]
	s_mov_b32 s53, 0x3fd71e95
	s_mov_b32 s52, s24
	v_mul_f64 v[218:219], v[142:143], s[40:41]
	v_mul_f64 v[96:97], v[186:187], s[30:31]
	s_mov_b32 s47, 0x3fe0d888
	s_mov_b32 s46, s42
	v_fma_f64 v[102:103], s[24:25], v[138:139], v[100:101]
	v_add_f64 v[106:107], v[2:3], v[106:107]
	v_mul_f64 v[118:119], v[154:155], s[52:53]
	v_fma_f64 v[220:221], s[36:37], v[124:125], v[218:219]
	v_mul_f64 v[88:89], v[200:201], s[6:7]
	v_fma_f64 v[98:99], s[46:47], v[150:151], v[96:97]
	v_add_f64 v[102:103], v[102:103], v[106:107]
	s_mov_b32 s59, 0x3fe58eea
	s_mov_b32 s58, s14
	v_mul_f64 v[114:115], v[166:167], s[42:43]
	v_fma_f64 v[216:217], s[4:5], v[132:133], v[118:119]
	v_add_f64 v[220:221], v[0:1], v[220:221]
	v_mul_f64 v[84:85], v[206:207], s[26:27]
	s_mov_b32 s51, 0x3fe9895b
	s_mov_b32 s50, s28
	v_fma_f64 v[90:91], s[14:15], v[160:161], v[88:89]
	v_add_f64 v[98:99], v[98:99], v[102:103]
	v_mul_f64 v[110:111], v[180:181], s[58:59]
	v_fma_f64 v[116:117], s[30:31], v[140:141], v[114:115]
	v_add_f64 v[216:217], v[216:217], v[220:221]
	v_mul_f64 v[80:81], v[190:191], s[16:17]
	v_fma_f64 v[86:87], s[50:51], v[172:173], v[84:85]
	v_add_f64 v[90:91], v[90:91], v[98:99]
	s_mov_b32 s49, 0x3feca52d
	s_mov_b32 s48, s34
	v_mul_f64 v[106:107], v[194:195], s[28:29]
	v_fma_f64 v[112:113], s[6:7], v[148:149], v[110:111]
	v_add_f64 v[116:117], v[116:117], v[216:217]
	v_mul_f64 v[74:75], v[202:203], s[22:23]
	s_mov_b32 s45, 0x3feec746
	s_mov_b32 s44, s38
	v_fma_f64 v[82:83], s[34:35], v[184:185], v[80:81]
	v_add_f64 v[86:87], v[86:87], v[90:91]
	v_mul_f64 v[98:99], v[204:205], s[48:49]
	v_fma_f64 v[108:109], s[26:27], v[158:159], v[106:107]
	v_add_f64 v[112:113], v[112:113], v[116:117]
	v_mul_f64 v[72:73], v[208:209], s[18:19]
	v_fma_f64 v[70:71], s[44:45], v[198:199], v[74:75]
	v_add_f64 v[82:83], v[82:83], v[86:87]
	s_mov_b32 s57, 0x3fefdd0d
	s_mov_b32 s56, s20
	v_mul_f64 v[86:87], v[210:211], s[38:39]
	v_fma_f64 v[102:103], s[16:17], v[170:171], v[98:99]
	v_add_f64 v[108:109], v[108:109], v[112:113]
	v_fma_f64 v[68:69], s[20:21], v[212:213], v[72:73]
	v_add_f64 v[70:71], v[70:71], v[82:83]
	v_mul_f64 v[82:83], v[214:215], s[56:57]
	v_fma_f64 v[90:91], s[22:23], v[182:183], v[86:87]
	v_add_f64 v[102:103], v[102:103], v[108:109]
	v_add_f64 v[70:71], v[68:69], v[70:71]
	v_fma_f64 v[68:69], s[18:19], v[192:193], v[82:83]
	v_add_f64 v[90:91], v[90:91], v[102:103]
	v_fmac_f64_e32 v[104:105], s[40:41], v[128:129]
	v_add_f64 v[68:69], v[68:69], v[90:91]
	v_fmac_f64_e32 v[100:101], s[52:53], v[138:139]
	;; [unrolled: 2-line block ×5, first 2 shown]
	v_add_f64 v[88:89], v[88:89], v[90:91]
	v_fma_f64 v[96:97], v[124:125], s[36:37], -v[218:219]
	v_fmac_f64_e32 v[80:81], s[48:49], v[184:185]
	v_add_f64 v[84:85], v[84:85], v[88:89]
	v_fma_f64 v[90:91], v[132:133], s[4:5], -v[118:119]
	v_add_f64 v[96:97], v[0:1], v[96:97]
	v_mul_f64 v[112:113], v[162:163], s[30:31]
	v_fmac_f64_e32 v[74:75], s[38:39], v[198:199]
	v_add_f64 v[80:81], v[80:81], v[84:85]
	v_fma_f64 v[88:89], v[140:141], s[30:31], -v[114:115]
	v_add_f64 v[90:91], v[90:91], v[96:97]
	v_mul_f64 v[108:109], v[174:175], s[16:17]
	v_fma_f64 v[114:115], s[46:47], v[128:129], v[112:113]
	v_add_f64 v[74:75], v[74:75], v[80:81]
	v_fma_f64 v[80:81], v[182:183], s[22:23], -v[86:87]
	v_fma_f64 v[86:87], v[148:149], s[6:7], -v[110:111]
	v_add_f64 v[88:89], v[88:89], v[90:91]
	v_mul_f64 v[104:105], v[186:187], s[18:19]
	v_fma_f64 v[110:111], s[34:35], v[138:139], v[108:109]
	v_add_f64 v[114:115], v[2:3], v[114:115]
	v_mul_f64 v[226:227], v[142:143], s[42:43]
	v_fmac_f64_e32 v[72:73], s[56:57], v[212:213]
	v_fma_f64 v[84:85], v[158:159], s[26:27], -v[106:107]
	v_add_f64 v[86:87], v[86:87], v[88:89]
	v_mul_f64 v[100:101], v[200:201], s[26:27]
	v_fma_f64 v[106:107], s[56:57], v[150:151], v[104:105]
	v_add_f64 v[110:111], v[110:111], v[114:115]
	v_mul_f64 v[222:223], v[154:155], s[48:49]
	v_fma_f64 v[228:229], s[30:31], v[124:125], v[226:227]
	v_add_f64 v[74:75], v[72:73], v[74:75]
	v_fma_f64 v[72:73], v[192:193], s[18:19], -v[82:83]
	v_fma_f64 v[82:83], v[170:171], s[16:17], -v[98:99]
	v_add_f64 v[84:85], v[84:85], v[86:87]
	v_mul_f64 v[96:97], v[206:207], s[4:5]
	v_fma_f64 v[102:103], s[28:29], v[160:161], v[100:101]
	v_add_f64 v[106:107], v[106:107], v[110:111]
	v_mul_f64 v[218:219], v[166:167], s[20:21]
	v_fma_f64 v[224:225], s[16:17], v[132:133], v[222:223]
	v_add_f64 v[228:229], v[0:1], v[228:229]
	v_add_f64 v[82:83], v[82:83], v[84:85]
	v_mul_f64 v[88:89], v[190:191], s[36:37]
	v_fma_f64 v[98:99], s[52:53], v[172:173], v[96:97]
	v_add_f64 v[102:103], v[102:103], v[106:107]
	v_mul_f64 v[216:217], v[180:181], s[50:51]
	v_fma_f64 v[220:221], s[18:19], v[140:141], v[218:219]
	v_add_f64 v[224:225], v[224:225], v[228:229]
	;; [unrolled: 7-line block ×4, first 2 shown]
	v_fma_f64 v[82:83], s[44:45], v[212:213], v[80:81]
	v_add_f64 v[86:87], v[86:87], v[90:91]
	v_mul_f64 v[90:91], v[210:211], s[58:59]
	v_fma_f64 v[106:107], s[36:37], v[170:171], v[102:103]
	v_add_f64 v[114:115], v[114:115], v[116:117]
	v_add_f64 v[118:119], v[82:83], v[86:87]
	v_mul_f64 v[86:87], v[214:215], s[38:39]
	v_fma_f64 v[98:99], s[6:7], v[182:183], v[90:91]
	v_add_f64 v[106:107], v[106:107], v[114:115]
	v_fma_f64 v[82:83], s[22:23], v[192:193], v[86:87]
	v_add_f64 v[98:99], v[98:99], v[106:107]
	v_fmac_f64_e32 v[112:113], s[42:43], v[128:129]
	v_add_f64 v[116:117], v[82:83], v[98:99]
	v_fmac_f64_e32 v[108:109], s[48:49], v[138:139]
	;; [unrolled: 2-line block ×7, first 2 shown]
	v_add_f64 v[82:83], v[88:89], v[82:83]
	v_add_f64 v[82:83], v[84:85], v[82:83]
	v_fma_f64 v[84:85], v[182:183], s[6:7], -v[90:91]
	v_fma_f64 v[90:91], v[148:149], s[26:27], -v[216:217]
	;; [unrolled: 1-line block ×3, first 2 shown]
	v_mul_f64 v[216:217], v[162:163], s[26:27]
	v_fma_f64 v[96:97], v[140:141], s[18:19], -v[218:219]
	v_fma_f64 v[98:99], v[132:133], s[16:17], -v[222:223]
	v_add_f64 v[100:101], v[0:1], v[100:101]
	v_mul_f64 v[112:113], v[174:175], s[22:23]
	v_fma_f64 v[218:219], s[50:51], v[128:129], v[216:217]
	v_mul_f64 v[234:235], v[142:143], s[28:29]
	v_add_f64 v[98:99], v[98:99], v[100:101]
	v_mul_f64 v[108:109], v[186:187], s[4:5]
	v_fma_f64 v[114:115], s[38:39], v[138:139], v[112:113]
	v_add_f64 v[218:219], v[2:3], v[218:219]
	v_mul_f64 v[230:231], v[154:155], s[44:45]
	v_fma_f64 v[236:237], s[26:27], v[124:125], v[234:235]
	v_fma_f64 v[88:89], v[158:159], s[4:5], -v[110:111]
	v_add_f64 v[96:97], v[96:97], v[98:99]
	v_mul_f64 v[104:105], v[200:201], s[30:31]
	v_fma_f64 v[110:111], s[52:53], v[150:151], v[108:109]
	v_add_f64 v[114:115], v[114:115], v[218:219]
	v_mul_f64 v[226:227], v[166:167], s[24:25]
	v_fma_f64 v[232:233], s[22:23], v[132:133], v[230:231]
	v_add_f64 v[236:237], v[0:1], v[236:237]
	v_fmac_f64_e32 v[80:81], s[38:39], v[212:213]
	v_add_f64 v[90:91], v[90:91], v[96:97]
	v_mul_f64 v[100:101], v[206:207], s[18:19]
	v_fma_f64 v[106:107], s[46:47], v[160:161], v[104:105]
	v_add_f64 v[110:111], v[110:111], v[114:115]
	v_mul_f64 v[222:223], v[180:181], s[42:43]
	v_fma_f64 v[228:229], s[4:5], v[140:141], v[226:227]
	v_add_f64 v[232:233], v[232:233], v[236:237]
	v_add_f64 v[82:83], v[80:81], v[82:83]
	v_fma_f64 v[80:81], v[192:193], s[22:23], -v[86:87]
	v_fma_f64 v[86:87], v[170:171], s[36:37], -v[102:103]
	v_add_f64 v[88:89], v[88:89], v[90:91]
	v_mul_f64 v[96:97], v[190:191], s[6:7]
	v_fma_f64 v[102:103], s[20:21], v[172:173], v[100:101]
	v_add_f64 v[106:107], v[106:107], v[110:111]
	v_mul_f64 v[218:219], v[194:195], s[56:57]
	v_fma_f64 v[224:225], s[30:31], v[148:149], v[222:223]
	v_add_f64 v[228:229], v[228:229], v[232:233]
	v_add_f64 v[86:87], v[86:87], v[88:89]
	v_mul_f64 v[90:91], v[202:203], s[36:37]
	v_fma_f64 v[98:99], s[58:59], v[184:185], v[96:97]
	v_add_f64 v[102:103], v[102:103], v[106:107]
	v_mul_f64 v[110:111], v[204:205], s[14:15]
	v_fma_f64 v[220:221], s[18:19], v[158:159], v[218:219]
	v_add_f64 v[224:225], v[224:225], v[228:229]
	;; [unrolled: 7-line block ×3, first 2 shown]
	v_add_f64 v[80:81], v[80:81], v[84:85]
	v_fma_f64 v[84:85], s[34:35], v[212:213], v[88:89]
	v_add_f64 v[86:87], v[86:87], v[98:99]
	v_mul_f64 v[98:99], v[214:215], s[48:49]
	v_fma_f64 v[106:107], s[36:37], v[182:183], v[102:103]
	v_add_f64 v[114:115], v[114:115], v[220:221]
	v_add_f64 v[86:87], v[84:85], v[86:87]
	v_fma_f64 v[84:85], s[16:17], v[192:193], v[98:99]
	v_add_f64 v[106:107], v[106:107], v[114:115]
	v_fmac_f64_e32 v[216:217], s[28:29], v[128:129]
	v_add_f64 v[84:85], v[84:85], v[106:107]
	v_fmac_f64_e32 v[112:113], s[44:45], v[138:139]
	;; [unrolled: 2-line block ×6, first 2 shown]
	v_add_f64 v[100:101], v[100:101], v[104:105]
	v_fma_f64 v[108:109], v[124:125], s[26:27], -v[234:235]
	v_mul_f64 v[224:225], v[162:163], s[22:23]
	v_fmac_f64_e32 v[90:91], s[40:41], v[198:199]
	v_add_f64 v[96:97], v[96:97], v[100:101]
	v_fma_f64 v[104:105], v[140:141], s[4:5], -v[226:227]
	v_fma_f64 v[106:107], v[132:133], s[22:23], -v[230:231]
	v_add_f64 v[108:109], v[0:1], v[108:109]
	v_mul_f64 v[220:221], v[174:175], s[30:31]
	v_fma_f64 v[226:227], s[44:45], v[128:129], v[224:225]
	v_mul_f64 v[242:243], v[142:143], s[38:39]
	v_add_f64 v[90:91], v[90:91], v[96:97]
	v_fma_f64 v[96:97], v[182:183], s[36:37], -v[102:103]
	v_fma_f64 v[102:103], v[148:149], s[30:31], -v[222:223]
	v_add_f64 v[106:107], v[106:107], v[108:109]
	v_mul_f64 v[216:217], v[186:187], s[6:7]
	v_fma_f64 v[222:223], s[42:43], v[138:139], v[220:221]
	v_add_f64 v[226:227], v[2:3], v[226:227]
	v_mul_f64 v[238:239], v[154:155], s[46:47]
	v_fma_f64 v[244:245], s[22:23], v[124:125], v[242:243]
	v_fma_f64 v[100:101], v[158:159], s[18:19], -v[218:219]
	v_add_f64 v[104:105], v[104:105], v[106:107]
	v_mul_f64 v[112:113], v[200:201], s[16:17]
	v_fma_f64 v[218:219], s[14:15], v[150:151], v[216:217]
	v_add_f64 v[222:223], v[222:223], v[226:227]
	v_mul_f64 v[234:235], v[166:167], s[58:59]
	v_fma_f64 v[240:241], s[30:31], v[132:133], v[238:239]
	v_add_f64 v[244:245], v[0:1], v[244:245]
	v_fmac_f64_e32 v[88:89], s[48:49], v[212:213]
	v_add_f64 v[102:103], v[102:103], v[104:105]
	v_mul_f64 v[108:109], v[206:207], s[36:37]
	v_fma_f64 v[114:115], s[48:49], v[160:161], v[112:113]
	v_add_f64 v[218:219], v[218:219], v[222:223]
	v_mul_f64 v[230:231], v[180:181], s[34:35]
	v_fma_f64 v[236:237], s[6:7], v[140:141], v[234:235]
	v_add_f64 v[240:241], v[240:241], v[244:245]
	v_add_f64 v[90:91], v[88:89], v[90:91]
	v_fma_f64 v[88:89], v[192:193], s[16:17], -v[98:99]
	v_fma_f64 v[98:99], v[170:171], s[6:7], -v[110:111]
	v_add_f64 v[100:101], v[100:101], v[102:103]
	v_mul_f64 v[104:105], v[190:191], s[18:19]
	v_fma_f64 v[110:111], s[54:55], v[172:173], v[108:109]
	v_add_f64 v[114:115], v[114:115], v[218:219]
	v_mul_f64 v[226:227], v[194:195], s[40:41]
	v_fma_f64 v[232:233], s[16:17], v[148:149], v[230:231]
	v_add_f64 v[236:237], v[236:237], v[240:241]
	v_add_f64 v[98:99], v[98:99], v[100:101]
	v_mul_f64 v[102:103], v[202:203], s[4:5]
	v_fma_f64 v[106:107], s[20:21], v[184:185], v[104:105]
	v_add_f64 v[110:111], v[110:111], v[114:115]
	v_mul_f64 v[218:219], v[204:205], s[56:57]
	v_fma_f64 v[228:229], s[36:37], v[158:159], v[226:227]
	v_add_f64 v[232:233], v[232:233], v[236:237]
	;; [unrolled: 7-line block ×3, first 2 shown]
	v_add_f64 v[88:89], v[88:89], v[96:97]
	v_fma_f64 v[96:97], s[50:51], v[212:213], v[100:101]
	v_add_f64 v[98:99], v[98:99], v[106:107]
	v_mul_f64 v[106:107], v[214:215], s[28:29]
	v_fma_f64 v[114:115], s[4:5], v[182:183], v[110:111]
	v_add_f64 v[222:223], v[222:223], v[228:229]
	v_add_f64 v[98:99], v[96:97], v[98:99]
	v_fma_f64 v[96:97], s[26:27], v[192:193], v[106:107]
	v_add_f64 v[114:115], v[114:115], v[222:223]
	v_fmac_f64_e32 v[224:225], s[38:39], v[128:129]
	v_add_f64 v[96:97], v[96:97], v[114:115]
	v_fmac_f64_e32 v[220:221], s[46:47], v[138:139]
	;; [unrolled: 2-line block ×6, first 2 shown]
	v_add_f64 v[108:109], v[108:109], v[112:113]
	v_fma_f64 v[216:217], v[124:125], s[22:23], -v[242:243]
	v_mul_f64 v[232:233], v[162:163], s[18:19]
	v_fmac_f64_e32 v[102:103], s[24:25], v[198:199]
	v_add_f64 v[104:105], v[104:105], v[108:109]
	v_fma_f64 v[112:113], v[140:141], s[6:7], -v[234:235]
	v_fma_f64 v[114:115], v[132:133], s[30:31], -v[238:239]
	v_add_f64 v[216:217], v[0:1], v[216:217]
	v_mul_f64 v[228:229], v[174:175], s[36:37]
	v_fma_f64 v[234:235], s[56:57], v[128:129], v[232:233]
	v_mul_f64 v[246:247], v[142:143], s[20:21]
	v_add_f64 v[102:103], v[102:103], v[104:105]
	v_fma_f64 v[104:105], v[182:183], s[4:5], -v[110:111]
	v_fma_f64 v[110:111], v[148:149], s[16:17], -v[230:231]
	v_add_f64 v[114:115], v[114:115], v[216:217]
	v_mul_f64 v[224:225], v[186:187], s[22:23]
	v_fma_f64 v[230:231], s[54:55], v[138:139], v[228:229]
	v_add_f64 v[234:235], v[2:3], v[234:235]
	v_mul_f64 v[242:243], v[154:155], s[40:41]
	v_fma_f64 v[248:249], s[18:19], v[124:125], v[246:247]
	v_fma_f64 v[108:109], v[158:159], s[36:37], -v[226:227]
	v_add_f64 v[112:113], v[112:113], v[114:115]
	v_mul_f64 v[220:221], v[200:201], s[4:5]
	v_fma_f64 v[226:227], s[38:39], v[150:151], v[224:225]
	v_add_f64 v[230:231], v[230:231], v[234:235]
	v_mul_f64 v[240:241], v[166:167], s[44:45]
	v_fma_f64 v[244:245], s[36:37], v[132:133], v[242:243]
	v_add_f64 v[248:249], v[0:1], v[248:249]
	v_fmac_f64_e32 v[100:101], s[28:29], v[212:213]
	v_add_f64 v[110:111], v[110:111], v[112:113]
	v_mul_f64 v[216:217], v[206:207], s[16:17]
	v_fma_f64 v[222:223], s[24:25], v[160:161], v[220:221]
	v_add_f64 v[226:227], v[226:227], v[230:231]
	v_mul_f64 v[238:239], v[180:181], s[52:53]
	v_add_f64 v[244:245], v[244:245], v[248:249]
	v_fma_f64 v[248:249], s[22:23], v[140:141], v[240:241]
	v_add_f64 v[102:103], v[100:101], v[102:103]
	v_fma_f64 v[100:101], v[192:193], s[26:27], -v[106:107]
	v_fma_f64 v[106:107], v[170:171], s[18:19], -v[218:219]
	v_add_f64 v[108:109], v[108:109], v[110:111]
	v_mul_f64 v[112:113], v[190:191], s[30:31]
	v_fma_f64 v[218:219], s[48:49], v[172:173], v[216:217]
	v_add_f64 v[222:223], v[222:223], v[226:227]
	v_mul_f64 v[234:235], v[194:195], s[34:35]
	v_add_f64 v[244:245], v[248:249], v[244:245]
	v_fma_f64 v[248:249], s[4:5], v[148:149], v[238:239]
	v_add_f64 v[106:107], v[106:107], v[108:109]
	v_mul_f64 v[110:111], v[202:203], s[26:27]
	v_fma_f64 v[114:115], s[46:47], v[184:185], v[112:113]
	v_add_f64 v[218:219], v[218:219], v[222:223]
	v_mul_f64 v[226:227], v[204:205], s[42:43]
	v_fma_f64 v[236:237], s[16:17], v[158:159], v[234:235]
	v_add_f64 v[244:245], v[248:249], v[244:245]
	v_add_f64 v[104:105], v[104:105], v[106:107]
	v_mul_f64 v[108:109], v[208:209], s[6:7]
	v_fma_f64 v[106:107], s[28:29], v[198:199], v[110:111]
	v_add_f64 v[114:115], v[114:115], v[218:219]
	v_mul_f64 v[222:223], v[210:211], s[50:51]
	v_fma_f64 v[230:231], s[30:31], v[170:171], v[226:227]
	v_add_f64 v[236:237], v[236:237], v[244:245]
	v_add_f64 v[100:101], v[100:101], v[104:105]
	v_fma_f64 v[104:105], s[14:15], v[212:213], v[108:109]
	v_add_f64 v[106:107], v[106:107], v[114:115]
	v_mul_f64 v[218:219], v[214:215], s[58:59]
	v_fma_f64 v[114:115], s[26:27], v[182:183], v[222:223]
	v_add_f64 v[230:231], v[230:231], v[236:237]
	v_add_f64 v[106:107], v[104:105], v[106:107]
	v_fma_f64 v[104:105], s[6:7], v[192:193], v[218:219]
	v_add_f64 v[114:115], v[114:115], v[230:231]
	v_fmac_f64_e32 v[232:233], s[20:21], v[128:129]
	v_add_f64 v[104:105], v[104:105], v[114:115]
	v_fmac_f64_e32 v[228:229], s[40:41], v[138:139]
	;; [unrolled: 2-line block ×8, first 2 shown]
	v_add_f64 v[110:111], v[110:111], v[112:113]
	v_fma_f64 v[224:225], v[124:125], s[18:19], -v[246:247]
	v_add_f64 v[114:115], v[108:109], v[110:111]
	v_fma_f64 v[110:111], v[182:183], s[26:27], -v[222:223]
	v_fma_f64 v[220:221], v[140:141], s[22:23], -v[240:241]
	v_fma_f64 v[222:223], v[132:133], s[36:37], -v[242:243]
	v_add_f64 v[224:225], v[0:1], v[224:225]
	v_mul_f64 v[240:241], v[162:163], s[16:17]
	v_add_f64 v[222:223], v[222:223], v[224:225]
	v_mul_f64 v[236:237], v[174:175], s[26:27]
	v_fma_f64 v[242:243], s[48:49], v[128:129], v[240:241]
	v_fma_f64 v[108:109], v[192:193], s[6:7], -v[218:219]
	v_fma_f64 v[218:219], v[148:149], s[4:5], -v[238:239]
	v_add_f64 v[220:221], v[220:221], v[222:223]
	v_mul_f64 v[232:233], v[186:187], s[36:37]
	v_fma_f64 v[238:239], s[50:51], v[138:139], v[236:237]
	v_add_f64 v[242:243], v[2:3], v[242:243]
	v_fma_f64 v[216:217], v[158:159], s[16:17], -v[234:235]
	v_add_f64 v[218:219], v[218:219], v[220:221]
	v_mul_f64 v[228:229], v[200:201], s[22:23]
	v_fma_f64 v[234:235], s[40:41], v[150:151], v[232:233]
	v_add_f64 v[238:239], v[238:239], v[242:243]
	;; [unrolled: 5-line block ×3, first 2 shown]
	v_add_f64 v[112:113], v[112:113], v[216:217]
	v_mul_f64 v[220:221], v[190:191], s[4:5]
	v_fma_f64 v[226:227], s[14:15], v[172:173], v[224:225]
	v_add_f64 v[230:231], v[230:231], v[234:235]
	v_add_f64 v[110:111], v[110:111], v[112:113]
	v_mul_f64 v[218:219], v[202:203], s[18:19]
	v_fma_f64 v[222:223], s[52:53], v[184:185], v[220:221]
	v_add_f64 v[226:227], v[226:227], v[230:231]
	;; [unrolled: 4-line block ×3, first 2 shown]
	v_mul_f64 v[246:247], v[142:143], s[34:35]
	v_fma_f64 v[108:109], s[46:47], v[212:213], v[216:217]
	v_add_f64 v[110:111], v[110:111], v[222:223]
	v_mul_f64 v[244:245], v[154:155], s[28:29]
	v_fma_f64 v[248:249], s[16:17], v[124:125], v[246:247]
	v_fmac_f64_e32 v[240:241], s[34:35], v[128:129]
	v_add_f64 v[110:111], v[108:109], v[110:111]
	v_mul_f64 v[242:243], v[166:167], s[54:55]
	v_fma_f64 v[108:109], s[26:27], v[132:133], v[244:245]
	v_add_f64 v[248:249], v[0:1], v[248:249]
	v_fmac_f64_e32 v[236:237], s[28:29], v[138:139]
	v_add_f64 v[240:241], v[2:3], v[240:241]
	v_mul_f64 v[238:239], v[180:181], s[44:45]
	v_add_f64 v[108:109], v[108:109], v[248:249]
	v_fma_f64 v[248:249], s[36:37], v[140:141], v[242:243]
	v_add_f64 v[236:237], v[236:237], v[240:241]
	v_fmac_f64_e32 v[232:233], s[54:55], v[150:151]
	v_mul_f64 v[234:235], v[194:195], s[58:59]
	v_add_f64 v[108:109], v[248:249], v[108:109]
	v_fma_f64 v[248:249], s[22:23], v[148:149], v[238:239]
	v_add_f64 v[232:233], v[232:233], v[236:237]
	v_fmac_f64_e32 v[228:229], s[44:45], v[160:161]
	;; [unrolled: 5-line block ×5, first 2 shown]
	v_fma_f64 v[246:247], v[124:125], s[16:17], -v[246:247]
	v_add_f64 v[108:109], v[248:249], v[108:109]
	v_fma_f64 v[248:249], s[30:31], v[192:193], v[222:223]
	v_add_f64 v[218:219], v[218:219], v[220:221]
	v_fma_f64 v[244:245], v[132:133], s[26:27], -v[244:245]
	v_add_f64 v[246:247], v[0:1], v[246:247]
	v_fmac_f64_e32 v[216:217], s[42:43], v[212:213]
	v_add_f64 v[108:109], v[248:249], v[108:109]
	v_mul_f64 v[248:249], v[162:163], s[4:5]
	v_add_f64 v[244:245], v[244:245], v[246:247]
	v_add_f64 v[218:219], v[216:217], v[218:219]
	v_fma_f64 v[216:217], v[192:193], s[30:31], -v[222:223]
	v_fma_f64 v[222:223], v[182:183], s[18:19], -v[226:227]
	v_fma_f64 v[226:227], v[170:171], s[4:5], -v[230:231]
	v_fma_f64 v[230:231], v[158:159], s[6:7], -v[234:235]
	v_fma_f64 v[234:235], v[148:149], s[22:23], -v[238:239]
	v_fma_f64 v[238:239], v[140:141], s[36:37], -v[242:243]
	v_mul_f64 v[162:163], v[162:163], s[6:7]
	v_mul_f64 v[240:241], v[174:175], s[6:7]
	v_add_f64 v[238:239], v[238:239], v[244:245]
	v_mul_f64 v[174:175], v[174:175], s[18:19]
	v_fma_f64 v[244:245], s[58:59], v[128:129], v[162:163]
	v_mul_f64 v[232:233], v[186:187], s[16:17]
	v_mul_f64 v[246:247], v[206:207], s[22:23]
	;; [unrolled: 1-line block ×4, first 2 shown]
	v_fma_f64 v[206:207], s[56:57], v[138:139], v[174:175]
	v_add_f64 v[244:245], v[2:3], v[244:245]
	v_mul_f64 v[224:225], v[200:201], s[18:19]
	v_mul_f64 v[200:201], v[200:201], s[36:37]
	v_add_f64 v[206:207], v[206:207], v[244:245]
	v_fma_f64 v[244:245], s[50:51], v[150:151], v[186:187]
	v_add_f64 v[234:235], v[234:235], v[238:239]
	v_add_f64 v[206:207], v[244:245], v[206:207]
	v_fma_f64 v[244:245], s[54:55], v[160:161], v[200:201]
	v_add_f64 v[230:231], v[230:231], v[234:235]
	v_mul_f64 v[238:239], v[190:191], s[22:23]
	v_add_f64 v[206:207], v[244:245], v[206:207]
	v_fma_f64 v[244:245], s[42:43], v[172:173], v[242:243]
	v_add_f64 v[226:227], v[226:227], v[230:231]
	v_mul_f64 v[230:231], v[202:203], s[16:17]
	v_add_f64 v[206:207], v[244:245], v[206:207]
	v_fma_f64 v[244:245], s[38:39], v[184:185], v[238:239]
	v_fma_f64 v[234:235], s[34:35], v[198:199], v[230:231]
	v_add_f64 v[206:207], v[244:245], v[206:207]
	v_mul_f64 v[188:189], v[124:125], s[4:5]
	v_add_f64 v[206:207], v[234:235], v[206:207]
	v_mul_f64 v[234:235], v[142:143], s[14:15]
	v_fma_f64 v[142:143], s[6:7], v[124:125], v[234:235]
	v_fmac_f64_e32 v[162:163], s[14:15], v[128:129]
	v_fma_f64 v[124:125], v[124:125], s[6:7], -v[234:235]
	v_add_f64 v[120:121], v[120:121], v[248:249]
	v_add_f64 v[78:79], v[188:189], -v[78:79]
	v_add_f64 v[142:143], v[0:1], v[142:143]
	v_add_f64 v[128:129], v[2:3], v[162:163]
	;; [unrolled: 1-line block ×11, first 2 shown]
	v_mul_f64 v[222:223], v[208:209], s[4:5]
	v_add_f64 v[2:3], v[6:7], v[2:3]
	v_add_f64 v[0:1], v[4:5], v[0:1]
	v_fma_f64 v[226:227], s[24:25], v[212:213], v[222:223]
	v_mul_f64 v[154:155], v[154:155], s[20:21]
	v_add_f64 v[2:3], v[14:15], v[2:3]
	v_add_f64 v[0:1], v[12:13], v[0:1]
	v_mul_f64 v[250:251], v[132:133], s[6:7]
	v_add_f64 v[206:207], v[226:227], v[206:207]
	v_mul_f64 v[226:227], v[204:205], s[44:45]
	v_mul_f64 v[166:167], v[166:167], s[28:29]
	v_fma_f64 v[204:205], s[18:19], v[132:133], v[154:155]
	v_fmac_f64_e32 v[174:175], s[20:21], v[138:139]
	v_fma_f64 v[132:133], v[132:133], s[18:19], -v[154:155]
	v_add_f64 v[2:3], v[26:27], v[2:3]
	v_add_f64 v[0:1], v[24:25], v[0:1]
	v_mul_f64 v[236:237], v[140:141], s[16:17]
	v_mul_f64 v[180:181], v[180:181], s[40:41]
	v_add_f64 v[142:143], v[204:205], v[142:143]
	v_fma_f64 v[204:205], s[26:27], v[140:141], v[166:167]
	v_fmac_f64_e32 v[186:187], s[28:29], v[150:151]
	v_add_f64 v[128:129], v[174:175], v[128:129]
	v_fma_f64 v[140:141], v[140:141], s[26:27], -v[166:167]
	v_add_f64 v[124:125], v[132:133], v[124:125]
	v_add_f64 v[2:3], v[30:31], v[2:3]
	;; [unrolled: 1-line block ×3, first 2 shown]
	v_mul_f64 v[228:229], v[148:149], s[18:19]
	v_mul_f64 v[194:195], v[194:195], s[46:47]
	v_add_f64 v[142:143], v[204:205], v[142:143]
	v_fma_f64 v[204:205], s[36:37], v[148:149], v[180:181]
	v_fmac_f64_e32 v[200:201], s[40:41], v[160:161]
	v_add_f64 v[128:129], v[186:187], v[128:129]
	v_fma_f64 v[148:149], v[148:149], s[36:37], -v[180:181]
	v_add_f64 v[124:125], v[140:141], v[124:125]
	v_add_f64 v[2:3], v[22:23], v[2:3]
	;; [unrolled: 1-line block ×3, first 2 shown]
	v_mul_f64 v[220:221], v[158:159], s[22:23]
	v_add_f64 v[142:143], v[204:205], v[142:143]
	v_fma_f64 v[204:205], s[30:31], v[158:159], v[194:195]
	v_fmac_f64_e32 v[242:243], s[46:47], v[172:173]
	v_add_f64 v[128:129], v[200:201], v[128:129]
	v_fma_f64 v[158:159], v[158:159], s[30:31], -v[194:195]
	v_add_f64 v[124:125], v[148:149], v[124:125]
	v_add_f64 v[126:127], v[126:127], v[240:241]
	;; [unrolled: 1-line block ×4, first 2 shown]
	v_mul_f64 v[210:211], v[210:211], s[48:49]
	v_add_f64 v[142:143], v[204:205], v[142:143]
	v_fma_f64 v[204:205], s[22:23], v[170:171], v[226:227]
	v_fmac_f64_e32 v[238:239], s[44:45], v[184:185]
	v_add_f64 v[128:129], v[242:243], v[128:129]
	v_fma_f64 v[150:151], v[170:171], s[22:23], -v[226:227]
	v_add_f64 v[124:125], v[158:159], v[124:125]
	v_add_f64 v[134:135], v[134:135], v[232:233]
	;; [unrolled: 1-line block ×5, first 2 shown]
	v_mul_f64 v[214:215], v[214:215], s[52:53]
	v_add_f64 v[142:143], v[204:205], v[142:143]
	v_fma_f64 v[204:205], s[16:17], v[182:183], v[210:211]
	v_fmac_f64_e32 v[230:231], s[48:49], v[198:199]
	v_add_f64 v[128:129], v[238:239], v[128:129]
	v_fma_f64 v[138:139], v[182:183], s[16:17], -v[210:211]
	v_add_f64 v[124:125], v[150:151], v[124:125]
	v_add_f64 v[144:145], v[144:145], v[224:225]
	;; [unrolled: 1-line block ×3, first 2 shown]
	v_add_f64 v[122:123], v[250:251], -v[122:123]
	v_add_f64 v[2:3], v[46:47], v[2:3]
	v_add_f64 v[0:1], v[44:45], v[0:1]
	;; [unrolled: 1-line block ×3, first 2 shown]
	v_fma_f64 v[204:205], s[4:5], v[192:193], v[214:215]
	v_mul_f64 v[190:191], v[190:191], s[26:27]
	v_fmac_f64_e32 v[222:223], s[52:53], v[212:213]
	v_add_f64 v[128:129], v[230:231], v[128:129]
	v_add_f64 v[124:125], v[138:139], v[124:125]
	;; [unrolled: 1-line block ×4, first 2 shown]
	v_add_f64 v[130:131], v[236:237], -v[130:131]
	v_add_f64 v[78:79], v[122:123], v[78:79]
	v_add_f64 v[2:3], v[42:43], v[2:3]
	;; [unrolled: 1-line block ×4, first 2 shown]
	v_mul_f64 v[202:203], v[202:203], s[30:31]
	v_add_f64 v[142:143], v[222:223], v[128:129]
	v_fma_f64 v[128:129], v[192:193], s[4:5], -v[214:215]
	v_add_f64 v[132:133], v[164:165], v[190:191]
	v_add_f64 v[120:121], v[138:139], v[120:121]
	v_add_f64 v[134:135], v[228:229], -v[136:137]
	v_add_f64 v[78:79], v[130:131], v[78:79]
	v_add_f64 v[2:3], v[50:51], v[2:3]
	;; [unrolled: 1-line block ×3, first 2 shown]
	v_mul_f64 v[244:245], v[170:171], s[26:27]
	v_add_f64 v[140:141], v[128:129], v[124:125]
	v_add_f64 v[128:129], v[176:177], v[202:203]
	;; [unrolled: 1-line block ×3, first 2 shown]
	v_add_f64 v[132:133], v[220:221], -v[146:147]
	v_add_f64 v[78:79], v[134:135], v[78:79]
	v_add_f64 v[2:3], v[54:55], v[2:3]
	;; [unrolled: 1-line block ×3, first 2 shown]
	v_mul_f64 v[252:253], v[182:183], s[30:31]
	v_mul_f64 v[208:209], v[208:209], s[36:37]
	v_add_f64 v[120:121], v[128:129], v[120:121]
	v_add_f64 v[128:129], v[244:245], -v[156:157]
	v_add_f64 v[78:79], v[132:133], v[78:79]
	v_add_f64 v[2:3], v[58:59], v[2:3]
	;; [unrolled: 1-line block ×3, first 2 shown]
	v_mul_f64 v[212:213], v[192:193], s[36:37]
	v_add_f64 v[124:125], v[196:197], v[208:209]
	v_add_f64 v[126:127], v[252:253], -v[168:169]
	v_add_f64 v[78:79], v[128:129], v[78:79]
	v_add_f64 v[2:3], v[62:63], v[2:3]
	;; [unrolled: 1-line block ×3, first 2 shown]
	v_mul_lo_u16_e32 v4, 17, v254
	v_add_f64 v[124:125], v[124:125], v[120:121]
	v_add_f64 v[120:121], v[212:213], -v[178:179]
	v_add_f64 v[78:79], v[126:127], v[78:79]
	v_add_f64 v[2:3], v[66:67], v[2:3]
	;; [unrolled: 1-line block ×3, first 2 shown]
	v_lshlrev_b32_e32 v4, 4, v4
	v_add_f64 v[122:123], v[120:121], v[78:79]
	ds_write_b128 v4, v[0:3]
	ds_write_b128 v4, v[122:125] offset:16
	ds_write_b128 v4, v[140:143] offset:32
	;; [unrolled: 1-line block ×16, first 2 shown]
.LBB0_7:
	s_or_b64 exec, exec, s[0:1]
	s_mov_b64 s[0:1], 0x165
	v_lshl_add_u64 v[2:3], v[254:255], 0, s[0:1]
	s_mov_b64 s[0:1], 0x1dc
	v_lshl_add_u64 v[0:1], v[254:255], 0, s[0:1]
	;; [unrolled: 2-line block ×5, first 2 shown]
	s_movk_i32 s0, 0xf1
	v_mul_lo_u16_sdwa v1, v254, s0 dst_sel:DWORD dst_unused:UNUSED_PAD src0_sel:BYTE_0 src1_sel:DWORD
	v_lshrrev_b16_e32 v33, 12, v1
	v_mul_lo_u16_e32 v3, 17, v33
	v_sub_u16_e32 v3, v254, v3
	v_add_u16_e32 v32, 0x77, v254
	v_and_b32_e32 v77, 0xff, v3
	v_mul_lo_u16_sdwa v3, v32, s0 dst_sel:DWORD dst_unused:UNUSED_PAD src0_sel:BYTE_0 src1_sel:DWORD
	v_lshrrev_b16_e32 v81, 12, v3
	v_mul_lo_u16_e32 v7, 17, v81
	v_add_u16_e32 v58, 0xee, v254
	v_sub_u16_e32 v7, v32, v7
	v_mul_u32_u24_e32 v59, 0xf0f1, v58
	v_lshlrev_b32_e32 v5, 4, v77
	v_and_b32_e32 v120, 0xff, v7
	v_lshrrev_b32_e32 v121, 20, v59
	s_load_dwordx4 s[4:7], s[2:3], 0x0
	s_waitcnt lgkmcnt(0)
	s_barrier
	v_lshlrev_b32_e32 v7, 4, v120
	global_load_dwordx4 v[88:91], v5, s[10:11]
	global_load_dwordx4 v[96:99], v7, s[10:11]
	s_mov_b32 s0, 0xf0f1
	v_mul_lo_u16_e32 v5, 17, v121
	v_sub_u16_e32 v122, v58, v5
	v_mul_u32_u24_sdwa v5, v2, s0 dst_sel:DWORD dst_unused:UNUSED_PAD src0_sel:WORD_0 src1_sel:DWORD
	v_lshrrev_b32_e32 v123, 20, v5
	v_mul_lo_u16_e32 v9, 17, v123
	v_lshlrev_b32_e32 v7, 4, v122
	v_sub_u16_e32 v124, v2, v9
	v_lshlrev_b32_e32 v9, 4, v124
	global_load_dwordx4 v[100:103], v7, s[10:11]
	global_load_dwordx4 v[104:107], v9, s[10:11]
	v_mul_u32_u24_sdwa v7, v0, s0 dst_sel:DWORD dst_unused:UNUSED_PAD src0_sel:WORD_0 src1_sel:DWORD
	v_lshrrev_b32_e32 v125, 20, v7
	v_mul_lo_u16_e32 v9, 17, v125
	v_sub_u16_e32 v126, v0, v9
	v_mul_u32_u24_sdwa v9, v4, s0 dst_sel:DWORD dst_unused:UNUSED_PAD src0_sel:WORD_0 src1_sel:DWORD
	v_lshrrev_b32_e32 v127, 20, v9
	v_mul_lo_u16_e32 v11, 17, v127
	v_lshlrev_b32_e32 v10, 4, v126
	v_sub_u16_e32 v128, v4, v11
	v_lshlrev_b32_e32 v11, 4, v128
	global_load_dwordx4 v[108:111], v10, s[10:11]
	global_load_dwordx4 v[112:115], v11, s[10:11]
	v_mul_u32_u24_sdwa v10, v6, s0 dst_sel:DWORD dst_unused:UNUSED_PAD src0_sel:WORD_0 src1_sel:DWORD
	v_lshrrev_b32_e32 v129, 20, v10
	v_mul_lo_u16_e32 v11, 17, v129
	v_sub_u16_e32 v130, v6, v11
	v_mul_u32_u24_sdwa v11, v8, s0 dst_sel:DWORD dst_unused:UNUSED_PAD src0_sel:WORD_0 src1_sel:DWORD
	v_lshlrev_b32_e32 v12, 4, v130
	v_lshrrev_b32_e32 v131, 20, v11
	global_load_dwordx4 v[116:119], v12, s[10:11]
	v_mul_lo_u16_e32 v12, 17, v131
	v_sub_u16_e32 v132, v8, v12
	v_lshlrev_b32_e32 v12, 4, v132
	global_load_dwordx4 v[134:137], v12, s[10:11]
	v_mov_b32_e32 v12, 4
	v_lshlrev_b32_sdwa v80, v12, v254 dst_sel:DWORD dst_unused:UNUSED_PAD src0_sel:DWORD src1_sel:WORD_0
	ds_read_b128 v[12:15], v80
	ds_read_b128 v[16:19], v80 offset:1904
	ds_read_b128 v[20:23], v80 offset:15232
	;; [unrolled: 1-line block ×15, first 2 shown]
	v_mul_lo_u16_e32 v33, 34, v33
	v_and_b32_e32 v33, 0xfe, v33
	v_add_lshl_u32 v33, v33, v77, 4
	s_waitcnt lgkmcnt(0)
	s_barrier
	v_accvgpr_write_b32 a1, v33
	s_movk_i32 s14, 0x44
	v_cmp_gt_u16_e64 s[0:1], 34, v254
                                        ; implicit-def: $vgpr148_vgpr149
                                        ; implicit-def: $vgpr152_vgpr153
	s_waitcnt vmcnt(7)
	v_mul_f64 v[78:79], v[22:23], v[90:91]
	v_fma_f64 v[78:79], v[20:21], v[88:89], -v[78:79]
	v_mul_f64 v[86:87], v[20:21], v[90:91]
	v_accvgpr_write_b32 a6, v88
	s_waitcnt vmcnt(6)
	v_mul_f64 v[20:21], v[26:27], v[98:99]
	v_accvgpr_write_b32 a7, v89
	v_accvgpr_write_b32 a8, v90
	v_accvgpr_write_b32 a9, v91
	v_fmac_f64_e32 v[86:87], v[22:23], v[88:89]
	v_fma_f64 v[88:89], v[24:25], v[96:97], -v[20:21]
	v_mul_f64 v[90:91], v[24:25], v[98:99]
	v_accvgpr_write_b32 a2, v96
	s_waitcnt vmcnt(5)
	v_mul_f64 v[20:21], v[40:41], v[102:103]
	v_accvgpr_write_b32 a3, v97
	v_accvgpr_write_b32 a4, v98
	v_accvgpr_write_b32 a5, v99
	v_fmac_f64_e32 v[90:91], v[26:27], v[96:97]
	;; [unrolled: 9-line block ×7, first 2 shown]
	v_fma_f64 v[116:117], v[82:83], v[134:135], -v[20:21]
	v_add_f64 v[20:21], v[12:13], -v[78:79]
	v_add_f64 v[22:23], v[14:15], -v[86:87]
	v_fma_f64 v[12:13], v[12:13], 2.0, -v[20:21]
	v_fma_f64 v[14:15], v[14:15], 2.0, -v[22:23]
	v_add_f64 v[24:25], v[16:17], -v[88:89]
	v_add_f64 v[26:27], v[18:19], -v[90:91]
	ds_write_b128 v33, v[12:15]
	v_mul_u32_u24_e32 v12, 34, v81
	v_fma_f64 v[16:17], v[16:17], 2.0, -v[24:25]
	v_fma_f64 v[18:19], v[18:19], 2.0, -v[26:27]
	v_add_lshl_u32 v12, v12, v120, 4
	v_add_f64 v[38:39], v[28:29], -v[96:97]
	v_add_f64 v[40:41], v[30:31], -v[98:99]
	ds_write_b128 v33, v[20:23] offset:272
	ds_write_b128 v12, v[16:19]
	v_accvgpr_write_b32 a34, v12
	ds_write_b128 v12, v[24:27] offset:272
	v_mad_legacy_u16 v12, v121, 34, v122
	v_fma_f64 v[28:29], v[28:29], 2.0, -v[38:39]
	v_fma_f64 v[30:31], v[30:31], 2.0, -v[40:41]
	v_lshlrev_b32_e32 v12, 4, v12
	v_add_f64 v[42:43], v[34:35], -v[100:101]
	v_add_f64 v[44:45], v[36:37], -v[102:103]
	ds_write_b128 v12, v[28:31]
	v_accvgpr_write_b32 a35, v12
	ds_write_b128 v12, v[38:41] offset:272
	v_mad_legacy_u16 v12, v123, 34, v124
	v_fma_f64 v[34:35], v[34:35], 2.0, -v[42:43]
	v_fma_f64 v[36:37], v[36:37], 2.0, -v[44:45]
	v_lshlrev_b32_e32 v12, 4, v12
	v_add_f64 v[54:55], v[46:47], -v[104:105]
	v_add_f64 v[56:57], v[48:49], -v[106:107]
	;; [unrolled: 9-line block ×3, first 2 shown]
	ds_write_b128 v12, v[46:49]
	v_accvgpr_write_b32 a161, v12
	ds_write_b128 v12, v[54:57] offset:272
	v_mad_legacy_u16 v12, v127, 34, v128
	v_fma_f64 v[50:51], v[50:51], 2.0, -v[60:61]
	v_fma_f64 v[52:53], v[52:53], 2.0, -v[62:63]
	v_lshlrev_b32_e32 v12, 4, v12
	v_lshrrev_b16_e32 v33, 13, v1
	v_mul_f64 v[118:119], v[82:83], v[136:137]
	v_add_f64 v[72:73], v[64:65], -v[112:113]
	v_add_f64 v[74:75], v[66:67], -v[114:115]
	ds_write_b128 v12, v[50:53]
	v_accvgpr_write_b32 a167, v12
	ds_write_b128 v12, v[60:63] offset:272
	v_mad_legacy_u16 v12, v129, 34, v130
	v_mul_lo_u16_e32 v1, 34, v33
	v_lshrrev_b16_e32 v81, 13, v3
	v_fmac_f64_e32 v[118:119], v[84:85], v[134:135]
	v_fma_f64 v[64:65], v[64:65], 2.0, -v[72:73]
	v_fma_f64 v[66:67], v[66:67], 2.0, -v[74:75]
	v_lshlrev_b32_e32 v12, 4, v12
	v_sub_u16_e32 v1, v254, v1
	v_mul_lo_u16_e32 v3, 34, v81
	v_add_f64 v[82:83], v[68:69], -v[116:117]
	v_add_f64 v[84:85], v[70:71], -v[118:119]
	ds_write_b128 v12, v[64:67]
	v_accvgpr_write_b32 a37, v12
	ds_write_b128 v12, v[72:75] offset:272
	v_mad_legacy_u16 v12, v131, 34, v132
	v_and_b32_e32 v77, 0xff, v1
	v_sub_u16_e32 v3, v32, v3
	v_fma_f64 v[68:69], v[68:69], 2.0, -v[82:83]
	v_fma_f64 v[70:71], v[70:71], 2.0, -v[84:85]
	v_lshlrev_b32_e32 v12, 4, v12
	v_lshlrev_b32_e32 v1, 4, v77
	v_and_b32_e32 v106, 0xff, v3
	v_lshrrev_b32_e32 v107, 21, v59
	ds_write_b128 v12, v[68:71]
	ds_write_b128 v12, v[82:85] offset:272
	s_waitcnt lgkmcnt(0)
	s_barrier
	v_lshlrev_b32_e32 v3, 4, v106
	global_load_dwordx4 v[72:75], v1, s[10:11] offset:272
	global_load_dwordx4 v[82:85], v3, s[10:11] offset:272
	v_mul_lo_u16_e32 v1, 34, v107
	v_lshrrev_b32_e32 v113, 21, v5
	v_sub_u16_e32 v112, v58, v1
	v_mul_lo_u16_e32 v3, 34, v113
	v_lshlrev_b32_e32 v1, 4, v112
	v_sub_u16_e32 v114, v2, v3
	v_lshrrev_b32_e32 v115, 21, v7
	v_lshlrev_b32_e32 v2, 4, v114
	global_load_dwordx4 v[96:99], v1, s[10:11] offset:272
	global_load_dwordx4 v[88:91], v2, s[10:11] offset:272
	v_mul_lo_u16_e32 v1, 34, v115
	v_lshrrev_b32_e32 v117, 21, v9
	v_sub_u16_e32 v116, v0, v1
	v_mul_lo_u16_e32 v1, 34, v117
	v_lshlrev_b32_e32 v0, 4, v116
	v_sub_u16_e32 v118, v4, v1
	global_load_dwordx4 v[108:111], v0, s[10:11] offset:272
	v_lshlrev_b32_e32 v0, 4, v118
	v_lshrrev_b32_e32 v119, 21, v10
	global_load_dwordx4 v[100:103], v0, s[10:11] offset:272
	v_mul_lo_u16_e32 v0, 34, v119
	v_sub_u16_e32 v120, v6, v0
	v_accvgpr_write_b32 a26, v134
	v_lshlrev_b32_e32 v0, 4, v120
	v_lshrrev_b32_e32 v121, 21, v11
	v_accvgpr_write_b32 a27, v135
	v_accvgpr_write_b32 a28, v136
	;; [unrolled: 1-line block ×3, first 2 shown]
	global_load_dwordx4 v[132:135], v0, s[10:11] offset:272
	v_mul_lo_u16_e32 v0, 34, v121
	v_sub_u16_e32 v122, v8, v0
	v_lshlrev_b32_e32 v0, 4, v122
	global_load_dwordx4 v[128:131], v0, s[10:11] offset:272
	v_accvgpr_write_b32 a38, v12
	ds_read_b128 v[0:3], v80
	ds_read_b128 v[4:7], v80 offset:1904
	ds_read_b128 v[8:11], v80 offset:15232
	;; [unrolled: 1-line block ×15, first 2 shown]
	v_mul_lo_u16_e32 v33, 0x44, v33
	v_and_b32_e32 v33, 0xfc, v33
	v_add_lshl_u32 v33, v33, v77, 4
	s_waitcnt lgkmcnt(0)
	s_barrier
	v_accvgpr_write_b32 a39, v33
	s_waitcnt vmcnt(7)
	v_mul_f64 v[68:69], v[10:11], v[74:75]
	v_fma_f64 v[68:69], v[8:9], v[72:73], -v[68:69]
	v_mul_f64 v[70:71], v[8:9], v[74:75]
	v_accvgpr_write_b32 a44, v72
	s_waitcnt vmcnt(6)
	v_mul_f64 v[8:9], v[14:15], v[84:85]
	v_accvgpr_write_b32 a45, v73
	v_accvgpr_write_b32 a46, v74
	;; [unrolled: 1-line block ×3, first 2 shown]
	v_fmac_f64_e32 v[70:71], v[10:11], v[72:73]
	v_fma_f64 v[72:73], v[12:13], v[82:83], -v[8:9]
	s_waitcnt vmcnt(5)
	v_mul_f64 v[8:9], v[26:27], v[98:99]
	v_accvgpr_write_b32 a40, v82
	v_fma_f64 v[78:79], v[24:25], v[96:97], -v[8:9]
	s_waitcnt vmcnt(4)
	v_mul_f64 v[8:9], v[30:31], v[90:91]
	v_mul_f64 v[74:75], v[12:13], v[84:85]
	v_accvgpr_write_b32 a41, v83
	v_accvgpr_write_b32 a42, v84
	;; [unrolled: 1-line block ×3, first 2 shown]
	v_fma_f64 v[84:85], v[28:29], v[88:89], -v[8:9]
	v_mul_f64 v[86:87], v[28:29], v[90:91]
	v_accvgpr_write_b32 a48, v88
	s_waitcnt vmcnt(3)
	v_mul_f64 v[8:9], v[44:45], v[110:111]
	v_fmac_f64_e32 v[74:75], v[14:15], v[82:83]
	v_mul_f64 v[82:83], v[24:25], v[98:99]
	v_accvgpr_write_b32 a52, v96
	v_accvgpr_write_b32 a49, v89
	;; [unrolled: 1-line block ×4, first 2 shown]
	v_fmac_f64_e32 v[86:87], v[30:31], v[88:89]
	v_fma_f64 v[88:89], v[42:43], v[108:109], -v[8:9]
	s_waitcnt vmcnt(2)
	v_mul_f64 v[8:9], v[48:49], v[102:103]
	v_accvgpr_write_b32 a53, v97
	v_accvgpr_write_b32 a54, v98
	;; [unrolled: 1-line block ×3, first 2 shown]
	v_fmac_f64_e32 v[82:83], v[26:27], v[96:97]
	v_fma_f64 v[96:97], v[46:47], v[100:101], -v[8:9]
	v_mul_f64 v[98:99], v[46:47], v[102:103]
	v_accvgpr_write_b32 a56, v100
	s_waitcnt vmcnt(1)
	v_mul_f64 v[8:9], v[62:63], v[134:135]
	v_accvgpr_write_b32 a57, v101
	v_accvgpr_write_b32 a58, v102
	;; [unrolled: 1-line block ×3, first 2 shown]
	v_fmac_f64_e32 v[98:99], v[48:49], v[100:101]
	v_fma_f64 v[100:101], v[60:61], v[132:133], -v[8:9]
	s_waitcnt vmcnt(0)
	v_mul_f64 v[8:9], v[66:67], v[130:131]
	v_fma_f64 v[104:105], v[64:65], v[128:129], -v[8:9]
	v_add_f64 v[8:9], v[0:1], -v[68:69]
	v_add_f64 v[10:11], v[2:3], -v[70:71]
	v_fma_f64 v[0:1], v[0:1], 2.0, -v[8:9]
	v_fma_f64 v[2:3], v[2:3], 2.0, -v[10:11]
	v_add_f64 v[12:13], v[4:5], -v[72:73]
	v_add_f64 v[14:15], v[6:7], -v[74:75]
	ds_write_b128 v33, v[0:3]
	v_mul_u32_u24_e32 v0, 0x44, v81
	v_fma_f64 v[4:5], v[4:5], 2.0, -v[12:13]
	v_fma_f64 v[6:7], v[6:7], 2.0, -v[14:15]
	v_add_lshl_u32 v0, v0, v106, 4
	v_add_f64 v[24:25], v[16:17], -v[78:79]
	v_add_f64 v[26:27], v[18:19], -v[82:83]
	ds_write_b128 v33, v[8:11] offset:544
	ds_write_b128 v0, v[4:7]
	v_accvgpr_write_b32 a84, v0
	ds_write_b128 v0, v[12:15] offset:544
	v_mad_legacy_u16 v0, v107, s14, v112
	v_fma_f64 v[16:17], v[16:17], 2.0, -v[24:25]
	v_fma_f64 v[18:19], v[18:19], 2.0, -v[26:27]
	v_lshlrev_b32_e32 v0, 4, v0
	v_mul_f64 v[90:91], v[42:43], v[110:111]
	v_add_f64 v[28:29], v[20:21], -v[84:85]
	v_add_f64 v[30:31], v[22:23], -v[86:87]
	ds_write_b128 v0, v[16:19]
	v_accvgpr_write_b32 a85, v0
	ds_write_b128 v0, v[24:27] offset:544
	v_mad_legacy_u16 v0, v113, s14, v114
	v_fmac_f64_e32 v[90:91], v[44:45], v[108:109]
	v_fma_f64 v[20:21], v[20:21], 2.0, -v[28:29]
	v_fma_f64 v[22:23], v[22:23], 2.0, -v[30:31]
	v_lshlrev_b32_e32 v0, 4, v0
	v_add_f64 v[42:43], v[34:35], -v[88:89]
	v_add_f64 v[44:45], v[36:37], -v[90:91]
	ds_write_b128 v0, v[20:23]
	v_accvgpr_write_b32 a86, v0
	ds_write_b128 v0, v[28:31] offset:544
	v_mad_legacy_u16 v0, v115, s14, v116
	v_fma_f64 v[34:35], v[34:35], 2.0, -v[42:43]
	v_fma_f64 v[36:37], v[36:37], 2.0, -v[44:45]
	v_lshlrev_b32_e32 v0, 4, v0
	v_mul_f64 v[102:103], v[60:61], v[134:135]
	v_add_f64 v[46:47], v[38:39], -v[96:97]
	v_add_f64 v[48:49], v[40:41], -v[98:99]
	ds_write_b128 v0, v[34:37]
	v_accvgpr_write_b32 a87, v0
	ds_write_b128 v0, v[42:45] offset:544
	v_mad_legacy_u16 v0, v117, s14, v118
	v_fmac_f64_e32 v[102:103], v[62:63], v[132:133]
	v_fma_f64 v[38:39], v[38:39], 2.0, -v[46:47]
	v_fma_f64 v[40:41], v[40:41], 2.0, -v[48:49]
	v_lshlrev_b32_e32 v0, 4, v0
	v_mul_f64 v[64:65], v[64:65], v[130:131]
	v_add_f64 v[60:61], v[50:51], -v[100:101]
	v_add_f64 v[62:63], v[52:53], -v[102:103]
	ds_write_b128 v0, v[38:41]
	v_accvgpr_write_b32 a88, v0
	ds_write_b128 v0, v[46:49] offset:544
	v_mad_legacy_u16 v0, v119, s14, v120
	v_accvgpr_write_b32 a60, v108
	v_fmac_f64_e32 v[64:65], v[66:67], v[128:129]
	v_fma_f64 v[50:51], v[50:51], 2.0, -v[60:61]
	v_fma_f64 v[52:53], v[52:53], 2.0, -v[62:63]
	v_lshlrev_b32_e32 v0, 4, v0
	v_accvgpr_write_b32 a61, v109
	v_accvgpr_write_b32 a62, v110
	;; [unrolled: 1-line block ×3, first 2 shown]
	v_add_f64 v[108:109], v[54:55], -v[104:105]
	v_add_f64 v[110:111], v[56:57], -v[64:65]
	ds_write_b128 v0, v[50:53]
	v_accvgpr_write_b32 a89, v0
	ds_write_b128 v0, v[60:63] offset:544
	v_mad_legacy_u16 v0, v121, s14, v122
	v_accvgpr_write_b32 a64, v128
	v_fma_f64 v[136:137], v[54:55], 2.0, -v[108:109]
	v_fma_f64 v[138:139], v[56:57], 2.0, -v[110:111]
	v_lshlrev_b32_e32 v0, 4, v0
	v_accvgpr_write_b32 a65, v129
	v_accvgpr_write_b32 a66, v130
	;; [unrolled: 1-line block ×3, first 2 shown]
	ds_write_b128 v0, v[136:139]
	v_accvgpr_write_b32 a90, v0
	ds_write_b128 v0, v[108:111] offset:544
	s_waitcnt lgkmcnt(0)
	s_barrier
	ds_read_b128 v[144:147], v80
	ds_read_b128 v[140:143], v80 offset:1904
	ds_read_b128 v[116:119], v80 offset:4352
	;; [unrolled: 1-line block ×13, first 2 shown]
	v_accvgpr_write_b32 a68, v132
	v_accvgpr_write_b32 a69, v133
	;; [unrolled: 1-line block ×4, first 2 shown]
                                        ; implicit-def: $vgpr64_vgpr65
                                        ; implicit-def: $vgpr68_vgpr69
	s_and_saveexec_b64 s[2:3], s[0:1]
	s_cbranch_execz .LBB0_9
; %bb.8:
	ds_read_b128 v[136:139], v80 offset:3808
	ds_read_b128 v[108:111], v80 offset:8160
	;; [unrolled: 1-line block ×7, first 2 shown]
.LBB0_9:
	s_or_b64 exec, exec, s[2:3]
	v_add_u32_e32 v16, 0xffffffbc, v254
	v_cmp_gt_u16_e64 s[2:3], s14, v254
	s_mov_b32 s14, 0x37e14327
	s_mov_b32 s18, 0xe976ee23
	v_cndmask_b32_e64 v77, v16, v254, s[2:3]
	v_mul_hi_i32_i24_e32 v17, 0x60, v77
	v_mul_i32_i24_e32 v16, 0x60, v77
	v_lshl_add_u64 v[34:35], s[10:11], 0, v[16:17]
	global_load_dwordx4 v[36:39], v[34:35], off offset:864
	global_load_dwordx4 v[28:31], v[34:35], off offset:848
	;; [unrolled: 1-line block ×4, first 2 shown]
	s_movk_i32 s3, 0x79
	s_movk_i32 s2, 0x60
	s_mov_b32 s16, 0x429ad128
	s_mov_b32 s20, 0xaaaaaaaa
	;; [unrolled: 1-line block ×16, first 2 shown]
	s_waitcnt vmcnt(3)
	v_accvgpr_write_b32 a95, v39
	s_waitcnt vmcnt(2)
	v_accvgpr_write_b32 a99, v31
	;; [unrolled: 2-line block ×3, first 2 shown]
	s_waitcnt vmcnt(0) lgkmcnt(11)
	v_mul_f64 v[16:17], v[118:119], v[22:23]
	v_mul_f64 v[18:19], v[116:117], v[22:23]
	v_accvgpr_write_b32 a115, v23
	v_fma_f64 v[16:17], v[116:117], v[20:21], -v[16:17]
	v_accvgpr_write_b32 a114, v22
	v_accvgpr_write_b32 a113, v21
	v_accvgpr_write_b32 a112, v20
	v_fmac_f64_e32 v[18:19], v[118:119], v[20:21]
	s_waitcnt lgkmcnt(9)
	v_mul_f64 v[20:21], v[114:115], v[26:27]
	v_mul_f64 v[22:23], v[112:113], v[26:27]
	v_fma_f64 v[20:21], v[112:113], v[24:25], -v[20:21]
	v_accvgpr_write_b32 a106, v26
	v_accvgpr_write_b32 a105, v25
	v_accvgpr_write_b32 a104, v24
	v_fmac_f64_e32 v[22:23], v[114:115], v[24:25]
	s_waitcnt lgkmcnt(7)
	v_mul_f64 v[24:25], v[106:107], v[30:31]
	v_mul_f64 v[26:27], v[104:105], v[30:31]
	;; [unrolled: 8-line block ×3, first 2 shown]
	v_fma_f64 v[28:29], v[100:101], v[36:37], -v[28:29]
	v_accvgpr_write_b32 a94, v38
	v_accvgpr_write_b32 a93, v37
	;; [unrolled: 1-line block ×3, first 2 shown]
	v_fmac_f64_e32 v[30:31], v[102:103], v[36:37]
	global_load_dwordx4 v[36:39], v[34:35], off offset:896
	global_load_dwordx4 v[40:43], v[34:35], off offset:880
	s_waitcnt vmcnt(1)
	v_accvgpr_write_b32 a119, v39
	s_waitcnt vmcnt(0) lgkmcnt(3)
	v_mul_f64 v[34:35], v[14:15], v[42:43]
	v_fma_f64 v[52:53], v[12:13], v[40:41], -v[34:35]
	v_mul_f64 v[12:13], v[12:13], v[42:43]
	v_fmac_f64_e32 v[12:13], v[14:15], v[40:41]
	s_waitcnt lgkmcnt(1)
	v_mul_f64 v[14:15], v[10:11], v[38:39]
	v_fma_f64 v[14:15], v[8:9], v[36:37], -v[14:15]
	v_mul_f64 v[8:9], v[8:9], v[38:39]
	v_fmac_f64_e32 v[8:9], v[10:11], v[36:37]
	v_mul_lo_u16_sdwa v10, v32, s3 dst_sel:DWORD dst_unused:UNUSED_PAD src0_sel:BYTE_0 src1_sel:DWORD
	v_lshrrev_b16_e32 v81, 13, v10
	v_mul_lo_u16_e32 v10, 0x44, v81
	v_sub_u16_e32 v10, v32, v10
	v_and_b32_e32 v82, 0xff, v10
	v_mov_b64_e32 v[10:11], s[10:11]
	v_accvgpr_write_b32 a123, v43
	v_mad_u64_u32 v[10:11], s[2:3], v82, s2, v[10:11]
	v_accvgpr_write_b32 a122, v42
	v_accvgpr_write_b32 a121, v41
	;; [unrolled: 1-line block ×3, first 2 shown]
	global_load_dwordx4 v[48:51], v[10:11], off offset:864
	global_load_dwordx4 v[44:47], v[10:11], off offset:848
	;; [unrolled: 1-line block ×4, first 2 shown]
	v_accvgpr_write_b32 a118, v38
	v_accvgpr_write_b32 a117, v37
	;; [unrolled: 1-line block ×3, first 2 shown]
	s_mov_b32 s2, 0x36b3c0b5
	s_mov_b32 s3, 0x3fac98ee
	s_waitcnt vmcnt(3)
	v_accvgpr_write_b32 a131, v51
	s_waitcnt vmcnt(2)
	v_accvgpr_write_b32 a135, v47
	s_waitcnt vmcnt(1)
	v_mul_f64 v[36:37], v[122:123], v[42:43]
	s_waitcnt vmcnt(0)
	v_mul_f64 v[32:33], v[130:131], v[134:135]
	v_mul_f64 v[34:35], v[128:129], v[134:135]
	v_fma_f64 v[32:33], v[128:129], v[132:133], -v[32:33]
	v_fmac_f64_e32 v[34:35], v[130:131], v[132:133]
	global_load_dwordx4 v[60:63], v[10:11], off offset:896
	global_load_dwordx4 v[128:131], v[10:11], off offset:880
	v_mul_f64 v[38:39], v[120:121], v[42:43]
	v_accvgpr_write_b32 a143, v43
	v_fma_f64 v[36:37], v[120:121], v[40:41], -v[36:37]
	v_accvgpr_write_b32 a142, v42
	v_accvgpr_write_b32 a141, v41
	;; [unrolled: 1-line block ×3, first 2 shown]
	v_fmac_f64_e32 v[38:39], v[122:123], v[40:41]
	v_mul_f64 v[40:41], v[86:87], v[46:47]
	v_mul_f64 v[42:43], v[84:85], v[46:47]
	v_fma_f64 v[40:41], v[84:85], v[44:45], -v[40:41]
	v_accvgpr_write_b32 a134, v46
	v_accvgpr_write_b32 a133, v45
	;; [unrolled: 1-line block ×3, first 2 shown]
	v_fmac_f64_e32 v[42:43], v[86:87], v[44:45]
	v_mul_f64 v[44:45], v[6:7], v[50:51]
	v_fma_f64 v[44:45], v[4:5], v[48:49], -v[44:45]
	v_mul_f64 v[46:47], v[4:5], v[50:51]
	v_accvgpr_write_b32 a130, v50
	v_accvgpr_write_b32 a129, v49
	;; [unrolled: 1-line block ×3, first 2 shown]
	v_fmac_f64_e32 v[46:47], v[6:7], v[48:49]
	v_add_f64 v[6:7], v[18:19], -v[8:9]
	v_add_f64 v[10:11], v[22:23], v[12:13]
	v_add_f64 v[12:13], v[22:23], -v[12:13]
	v_add_f64 v[22:23], v[30:31], -v[26:27]
	s_waitcnt vmcnt(1) lgkmcnt(0)
	v_mul_f64 v[56:57], v[0:1], v[62:63]
	s_waitcnt vmcnt(0)
	v_mul_f64 v[4:5], v[74:75], v[130:131]
	v_fma_f64 v[48:49], v[72:73], v[128:129], -v[4:5]
	v_mul_f64 v[4:5], v[2:3], v[62:63]
	v_fma_f64 v[54:55], v[0:1], v[60:61], -v[4:5]
	v_lshrrev_b32_e32 v0, 22, v59
	v_mul_lo_u16_e32 v0, 0x44, v0
	v_sub_u16_e32 v156, v58, v0
	v_mul_lo_u16_e32 v0, 0x60, v156
	v_mov_b32_e32 v1, 0
	v_lshl_add_u64 v[0:1], s[10:11], 0, v[0:1]
	global_load_dwordx4 v[100:103], v[0:1], off offset:864
	global_load_dwordx4 v[104:107], v[0:1], off offset:848
	;; [unrolled: 1-line block ×4, first 2 shown]
	v_fmac_f64_e32 v[56:57], v[2:3], v[60:61]
	v_accvgpr_write_b32 a139, v63
	v_accvgpr_write_b32 a138, v62
	;; [unrolled: 1-line block ×4, first 2 shown]
	v_mul_f64 v[50:51], v[72:73], v[130:131]
	v_fmac_f64_e32 v[50:51], v[74:75], v[128:129]
	s_waitcnt vmcnt(2)
	v_mul_f64 v[86:87], v[64:65], v[106:107]
	s_waitcnt vmcnt(1)
	v_mul_f64 v[78:79], v[92:93], v[114:115]
	;; [unrolled: 2-line block ×3, first 2 shown]
	v_fma_f64 v[58:59], v[108:109], v[116:117], -v[2:3]
	v_mul_f64 v[2:3], v[94:95], v[114:115]
	v_fma_f64 v[62:63], v[92:93], v[112:113], -v[2:3]
	v_mul_f64 v[2:3], v[66:67], v[106:107]
	;; [unrolled: 2-line block ×3, first 2 shown]
	v_fma_f64 v[92:93], v[68:69], v[100:101], -v[2:3]
	global_load_dwordx4 v[120:123], v[0:1], off offset:896
	global_load_dwordx4 v[2:5], v[0:1], off offset:880
	v_mul_f64 v[60:61], v[108:109], v[118:119]
	v_fmac_f64_e32 v[60:61], v[110:111], v[116:117]
	v_fmac_f64_e32 v[78:79], v[94:95], v[112:113]
	;; [unrolled: 1-line block ×3, first 2 shown]
	v_mul_f64 v[94:95], v[68:69], v[102:103]
	v_fmac_f64_e32 v[94:95], v[70:71], v[100:101]
	v_add_f64 v[68:69], v[22:23], -v[12:13]
	v_mul_f64 v[72:73], v[68:69], s[18:19]
	s_barrier
	s_waitcnt vmcnt(0)
	v_mul_f64 v[0:1], v[150:151], v[4:5]
	v_fma_f64 v[108:109], v[148:149], v[2:3], -v[0:1]
	v_mul_f64 v[110:111], v[148:149], v[4:5]
	v_accvgpr_write_b32 a127, v5
	v_mul_f64 v[0:1], v[154:155], v[122:123]
	v_accvgpr_write_b32 a126, v4
	v_accvgpr_write_b32 a125, v3
	;; [unrolled: 1-line block ×3, first 2 shown]
	v_fmac_f64_e32 v[110:111], v[150:151], v[2:3]
	v_fma_f64 v[148:149], v[152:153], v[120:121], -v[0:1]
	v_add_f64 v[0:1], v[16:17], v[14:15]
	v_add_f64 v[2:3], v[18:19], v[8:9]
	;; [unrolled: 1-line block ×3, first 2 shown]
	v_add_f64 v[4:5], v[16:17], -v[14:15]
	v_add_f64 v[14:15], v[20:21], -v[52:53]
	v_add_f64 v[16:17], v[24:25], v[28:29]
	v_add_f64 v[20:21], v[28:29], -v[24:25]
	v_add_f64 v[24:25], v[8:9], v[0:1]
	v_add_f64 v[18:19], v[26:27], v[30:31]
	;; [unrolled: 1-line block ×3, first 2 shown]
	v_add_f64 v[28:29], v[8:9], -v[0:1]
	v_add_f64 v[52:53], v[0:1], -v[16:17]
	;; [unrolled: 1-line block ×3, first 2 shown]
	v_add_f64 v[0:1], v[20:21], v[14:15]
	v_add_f64 v[16:17], v[16:17], v[24:25]
	v_add_f64 v[30:31], v[10:11], -v[2:3]
	v_add_f64 v[64:65], v[2:3], -v[18:19]
	;; [unrolled: 1-line block ×3, first 2 shown]
	v_add_f64 v[2:3], v[22:23], v[12:13]
	v_add_f64 v[66:67], v[20:21], -v[14:15]
	v_add_f64 v[20:21], v[4:5], -v[20:21]
	;; [unrolled: 1-line block ×3, first 2 shown]
	v_add_f64 v[18:19], v[18:19], v[26:27]
	v_add_f64 v[4:5], v[0:1], v[4:5]
	;; [unrolled: 1-line block ×3, first 2 shown]
	v_add_f64 v[22:23], v[6:7], -v[22:23]
	v_add_f64 v[12:13], v[12:13], -v[6:7]
	v_add_f64 v[6:7], v[2:3], v[6:7]
	v_add_f64 v[2:3], v[146:147], v[18:19]
	v_mov_b64_e32 v[70:71], v[0:1]
	v_mul_f64 v[24:25], v[52:53], s[14:15]
	v_mul_f64 v[26:27], v[64:65], s[14:15]
	;; [unrolled: 1-line block ×6, first 2 shown]
	v_fmac_f64_e32 v[70:71], s[20:21], v[16:17]
	v_mov_b64_e32 v[16:17], v[2:3]
	v_mul_f64 v[68:69], v[12:13], s[16:17]
	v_fmac_f64_e32 v[16:17], s[20:21], v[18:19]
	v_fma_f64 v[18:19], v[28:29], s[22:23], -v[52:53]
	v_fma_f64 v[52:53], v[30:31], s[22:23], -v[64:65]
	;; [unrolled: 1-line block ×3, first 2 shown]
	v_fmac_f64_e32 v[24:25], s[2:3], v[8:9]
	v_fma_f64 v[8:9], v[30:31], s[24:25], -v[26:27]
	v_fmac_f64_e32 v[26:27], s[2:3], v[10:11]
	v_fma_f64 v[30:31], v[14:15], s[16:17], -v[74:75]
	;; [unrolled: 2-line block ×4, first 2 shown]
	v_fma_f64 v[22:23], v[22:23], s[30:31], -v[68:69]
	v_add_f64 v[24:25], v[24:25], v[70:71]
	v_add_f64 v[26:27], v[26:27], v[16:17]
	;; [unrolled: 1-line block ×4, first 2 shown]
	v_fmac_f64_e32 v[72:73], s[28:29], v[6:7]
	v_fmac_f64_e32 v[20:21], s[28:29], v[4:5]
	v_add_f64 v[18:19], v[18:19], v[70:71]
	v_add_f64 v[28:29], v[28:29], v[70:71]
	v_fmac_f64_e32 v[74:75], s[28:29], v[4:5]
	v_fmac_f64_e32 v[30:31], s[28:29], v[4:5]
	;; [unrolled: 1-line block ×4, first 2 shown]
	v_add_f64 v[4:5], v[72:73], v[24:25]
	v_add_f64 v[10:11], v[16:17], -v[20:21]
	v_add_f64 v[70:71], v[20:21], v[16:17]
	v_add_f64 v[72:73], v[24:25], -v[72:73]
	v_add_f64 v[16:17], v[32:33], v[54:55]
	v_add_f64 v[24:25], v[36:37], v[48:49]
	v_add_f64 v[6:7], v[26:27], -v[74:75]
	v_add_f64 v[8:9], v[22:23], v[28:29]
	v_add_f64 v[12:13], v[18:19], -v[64:65]
	v_add_f64 v[64:65], v[64:65], v[18:19]
	v_add_f64 v[68:69], v[28:29], -v[22:23]
	v_add_f64 v[74:75], v[74:75], v[26:27]
	v_add_f64 v[18:19], v[34:35], v[56:57]
	v_add_f64 v[20:21], v[32:33], -v[54:55]
	;; [unrolled: 7-line block ×3, first 2 shown]
	v_add_f64 v[22:23], v[34:35], -v[56:57]
	v_add_f64 v[30:31], v[38:39], -v[50:51]
	v_add_f64 v[34:35], v[42:43], v[46:47]
	v_add_f64 v[38:39], v[46:47], -v[42:43]
	v_add_f64 v[42:43], v[26:27], v[18:19]
	v_add_f64 v[44:45], v[24:25], -v[16:17]
	v_add_f64 v[16:17], v[16:17], -v[32:33]
	;; [unrolled: 1-line block ×3, first 2 shown]
	v_add_f64 v[24:25], v[36:37], v[28:29]
	v_add_f64 v[32:33], v[32:33], v[40:41]
	v_add_f64 v[46:47], v[26:27], -v[18:19]
	v_add_f64 v[18:19], v[18:19], -v[34:35]
	;; [unrolled: 1-line block ×3, first 2 shown]
	v_add_f64 v[26:27], v[38:39], v[30:31]
	v_add_f64 v[52:53], v[36:37], -v[28:29]
	v_add_f64 v[36:37], v[20:21], -v[36:37]
	v_add_f64 v[28:29], v[28:29], -v[20:21]
	v_add_f64 v[34:35], v[34:35], v[42:43]
	v_add_f64 v[20:21], v[24:25], v[20:21]
	;; [unrolled: 1-line block ×3, first 2 shown]
	v_add_f64 v[54:55], v[38:39], -v[30:31]
	v_add_f64 v[38:39], v[22:23], -v[38:39]
	;; [unrolled: 1-line block ×3, first 2 shown]
	v_add_f64 v[22:23], v[26:27], v[22:23]
	v_add_f64 v[26:27], v[142:143], v[34:35]
	v_mov_b64_e32 v[90:91], v[24:25]
	v_mul_f64 v[16:17], v[16:17], s[14:15]
	v_mul_f64 v[18:19], v[18:19], s[14:15]
	;; [unrolled: 1-line block ×7, first 2 shown]
	v_fmac_f64_e32 v[90:91], s[20:21], v[32:33]
	v_mov_b64_e32 v[32:33], v[26:27]
	v_mul_f64 v[150:151], v[152:153], v[122:123]
	v_mul_f64 v[88:89], v[30:31], s[16:17]
	v_fmac_f64_e32 v[32:33], s[20:21], v[34:35]
	v_fma_f64 v[34:35], v[44:45], s[22:23], -v[40:41]
	v_fma_f64 v[40:41], v[46:47], s[22:23], -v[42:43]
	v_fma_f64 v[42:43], v[44:45], s[24:25], -v[16:17]
	v_fmac_f64_e32 v[16:17], s[2:3], v[48:49]
	v_fma_f64 v[44:45], v[46:47], s[24:25], -v[18:19]
	v_fmac_f64_e32 v[18:19], s[2:3], v[50:51]
	v_fma_f64 v[46:47], v[28:29], s[16:17], -v[52:53]
	;; [unrolled: 2-line block ×5, first 2 shown]
	v_add_f64 v[16:17], v[16:17], v[90:91]
	v_add_f64 v[18:19], v[18:19], v[32:33]
	;; [unrolled: 1-line block ×5, first 2 shown]
	v_fmac_f64_e32 v[52:53], s[28:29], v[20:21]
	v_fmac_f64_e32 v[54:55], s[28:29], v[22:23]
	;; [unrolled: 1-line block ×5, first 2 shown]
	v_add_f64 v[90:91], v[42:43], v[90:91]
	v_fmac_f64_e32 v[56:57], s[28:29], v[22:23]
	v_add_f64 v[28:29], v[54:55], v[16:17]
	v_add_f64 v[30:31], v[18:19], -v[52:53]
	v_add_f64 v[34:35], v[98:99], -v[50:51]
	;; [unrolled: 1-line block ×3, first 2 shown]
	v_add_f64 v[38:39], v[46:47], v[96:97]
	v_add_f64 v[40:41], v[48:49], v[88:89]
	v_add_f64 v[42:43], v[96:97], -v[46:47]
	v_add_f64 v[46:47], v[50:51], v[98:99]
	v_add_f64 v[48:49], v[16:17], -v[54:55]
	v_add_f64 v[50:51], v[52:53], v[18:19]
	v_add_f64 v[18:19], v[60:61], v[150:151]
	;; [unrolled: 1-line block ×4, first 2 shown]
	v_add_f64 v[44:45], v[90:91], -v[56:57]
	v_add_f64 v[16:17], v[58:59], v[148:149]
	v_add_f64 v[20:21], v[58:59], -v[148:149]
	v_add_f64 v[22:23], v[60:61], -v[150:151]
	v_add_f64 v[52:53], v[62:63], v[108:109]
	v_add_f64 v[56:57], v[62:63], -v[108:109]
	v_add_f64 v[58:59], v[78:79], -v[110:111]
	v_add_f64 v[60:61], v[84:85], v[92:93]
	v_add_f64 v[62:63], v[86:87], v[94:95]
	v_add_f64 v[78:79], v[92:93], -v[84:85]
	v_add_f64 v[84:85], v[94:95], -v[86:87]
	v_add_f64 v[88:89], v[54:55], v[18:19]
	v_add_f64 v[86:87], v[52:53], v[16:17]
	v_add_f64 v[92:93], v[54:55], -v[18:19]
	v_add_f64 v[18:19], v[18:19], -v[62:63]
	;; [unrolled: 1-line block ×3, first 2 shown]
	v_add_f64 v[94:95], v[78:79], v[56:57]
	v_add_f64 v[96:97], v[84:85], v[58:59]
	v_add_f64 v[98:99], v[78:79], -v[56:57]
	v_add_f64 v[62:63], v[62:63], v[88:89]
	v_add_f64 v[90:91], v[52:53], -v[16:17]
	v_add_f64 v[16:17], v[16:17], -v[60:61]
	;; [unrolled: 1-line block ×7, first 2 shown]
	v_add_f64 v[60:61], v[60:61], v[86:87]
	v_add_f64 v[88:89], v[94:95], v[20:21]
	;; [unrolled: 1-line block ×4, first 2 shown]
	v_mul_f64 v[22:23], v[18:19], s[14:15]
	v_mul_f64 v[96:97], v[54:55], s[2:3]
	;; [unrolled: 1-line block ×3, first 2 shown]
	v_add_f64 v[78:79], v[20:21], -v[78:79]
	v_add_f64 v[84:85], v[136:137], v[60:61]
	v_mul_f64 v[20:21], v[16:17], s[14:15]
	v_mul_f64 v[18:19], v[52:53], s[2:3]
	v_mul_f64 v[16:17], v[108:109], s[18:19]
	v_fma_f64 v[62:63], s[20:21], v[62:63], v[86:87]
	v_fma_f64 v[96:97], v[92:93], s[22:23], -v[96:97]
	v_fma_f64 v[92:93], v[92:93], s[24:25], -v[22:23]
	v_fmac_f64_e32 v[22:23], s[2:3], v[54:55]
	v_fma_f64 v[54:55], v[56:57], s[16:17], -v[98:99]
	v_mul_f64 v[108:109], v[56:57], s[16:17]
	v_mul_f64 v[136:137], v[58:59], s[16:17]
	v_fma_f64 v[60:61], s[20:21], v[60:61], v[84:85]
	v_fma_f64 v[52:53], s[2:3], v[52:53], v[20:21]
	v_fma_f64 v[138:139], v[90:91], s[22:23], -v[18:19]
	v_fma_f64 v[56:57], v[58:59], s[16:17], -v[16:17]
	v_add_f64 v[96:97], v[96:97], v[62:63]
	v_fmac_f64_e32 v[54:55], s[28:29], v[88:89]
	v_fma_f64 v[90:91], v[90:91], s[24:25], -v[20:21]
	v_fma_f64 v[18:19], s[26:27], v[78:79], v[98:99]
	v_fmac_f64_e32 v[16:17], s[26:27], v[110:111]
	v_fma_f64 v[58:59], v[78:79], s[30:31], -v[108:109]
	v_fma_f64 v[78:79], v[110:111], s[30:31], -v[136:137]
	v_add_f64 v[20:21], v[52:53], v[60:61]
	v_add_f64 v[52:53], v[138:139], v[60:61]
	v_fmac_f64_e32 v[56:57], s[28:29], v[94:95]
	v_add_f64 v[110:111], v[54:55], v[96:97]
	v_add_f64 v[54:55], v[96:97], -v[54:55]
	v_add_f64 v[22:23], v[22:23], v[62:63]
	v_add_f64 v[62:63], v[92:93], v[62:63]
	v_fmac_f64_e32 v[58:59], s[28:29], v[88:89]
	v_add_f64 v[108:109], v[52:53], -v[56:57]
	v_add_f64 v[52:53], v[56:57], v[52:53]
	v_accvgpr_write_b32 a151, v55
	v_add_f64 v[60:61], v[90:91], v[60:61]
	v_fmac_f64_e32 v[78:79], s[28:29], v[94:95]
	v_accvgpr_write_b32 a150, v54
	v_accvgpr_write_b32 a149, v53
	;; [unrolled: 1-line block ×3, first 2 shown]
	v_add_f64 v[54:55], v[58:59], v[62:63]
	v_fmac_f64_e32 v[18:19], s[28:29], v[88:89]
	v_add_f64 v[52:53], v[60:61], -v[78:79]
	v_accvgpr_write_b32 a155, v55
	v_fmac_f64_e32 v[16:17], s[28:29], v[94:95]
	v_accvgpr_write_b32 a154, v54
	v_accvgpr_write_b32 a153, v53
	;; [unrolled: 1-line block ×3, first 2 shown]
	v_add_f64 v[54:55], v[18:19], v[22:23]
	v_add_f64 v[52:53], v[20:21], -v[16:17]
	v_accvgpr_write_b32 a159, v55
	s_movk_i32 s2, 0x43
	v_accvgpr_write_b32 a158, v54
	v_accvgpr_write_b32 a157, v53
	;; [unrolled: 1-line block ×3, first 2 shown]
	v_cmp_lt_u16_e64 s[2:3], s2, v254
	v_mov_b32_e32 v52, 0x1dc
	v_add_f64 v[200:201], v[78:79], v[60:61]
	v_cndmask_b32_e64 v52, 0, v52, s[2:3]
	v_add_lshl_u32 v99, v77, v52, 4
	ds_write_b128 v99, v[0:3]
	ds_write_b128 v99, v[4:7] offset:1088
	ds_write_b128 v99, v[8:11] offset:2176
	;; [unrolled: 1-line block ×6, first 2 shown]
	v_mul_u32_u24_e32 v0, 0x1dc, v81
	v_add_f64 v[202:203], v[62:63], -v[58:59]
	v_add_lshl_u32 v81, v0, v82, 4
	v_lshlrev_b32_e32 v98, 4, v156
	ds_write_b128 v81, v[24:27]
	ds_write_b128 v81, v[28:31] offset:1088
	ds_write_b128 v81, v[32:35] offset:2176
	;; [unrolled: 1-line block ×6, first 2 shown]
	s_and_saveexec_b64 s[2:3], s[0:1]
	s_cbranch_execz .LBB0_11
; %bb.10:
	v_add_f64 v[2:3], v[22:23], -v[18:19]
	v_add_f64 v[0:1], v[16:17], v[20:21]
	ds_write_b128 v98, v[84:87] offset:22848
	ds_write_b128 v98, v[0:3] offset:23936
	;; [unrolled: 1-line block ×7, first 2 shown]
.LBB0_11:
	s_or_b64 exec, exec, s[2:3]
	v_mad_u64_u32 v[38:39], s[2:3], v254, 48, s[10:11]
	s_mov_b64 s[2:3], 0x1cb0
	s_movk_i32 s19, 0x1000
	v_lshl_add_u64 v[16:17], v[38:39], 0, s[2:3]
	v_add_co_u32_e64 v30, s[2:3], s19, v38
	s_waitcnt lgkmcnt(0)
	s_nop 0
	v_addc_co_u32_e64 v31, s[2:3], 0, v39, s[2:3]
	s_barrier
	ds_read_b128 v[140:143], v80
	ds_read_b128 v[18:21], v80 offset:7616
	ds_read_b128 v[22:25], v80 offset:15232
	;; [unrolled: 1-line block ×15, first 2 shown]
	global_load_dwordx4 v[152:155], v[30:31], off offset:3248
	global_load_dwordx4 v[148:151], v[16:17], off offset:32
	;; [unrolled: 1-line block ×3, first 2 shown]
	s_mov_b64 s[2:3], 0x3300
	s_movk_i32 s17, 0x3000
	s_movk_i32 s16, 0x4000
	;; [unrolled: 1-line block ×3, first 2 shown]
	v_accvgpr_write_b32 a166, v254
	s_waitcnt vmcnt(2) lgkmcnt(14)
	v_mul_f64 v[16:17], v[20:21], v[154:155]
	v_fma_f64 v[16:17], v[18:19], v[152:153], -v[16:17]
	v_mul_f64 v[18:19], v[18:19], v[154:155]
	v_fmac_f64_e32 v[18:19], v[20:21], v[152:153]
	s_waitcnt vmcnt(0) lgkmcnt(13)
	v_mul_f64 v[20:21], v[24:25], v[158:159]
	v_fma_f64 v[20:21], v[22:23], v[156:157], -v[20:21]
	v_mul_f64 v[22:23], v[22:23], v[158:159]
	v_fmac_f64_e32 v[22:23], v[24:25], v[156:157]
	s_waitcnt lgkmcnt(12)
	v_mul_f64 v[24:25], v[28:29], v[150:151]
	v_fma_f64 v[24:25], v[26:27], v[148:149], -v[24:25]
	v_mul_f64 v[26:27], v[26:27], v[150:151]
	v_fmac_f64_e32 v[26:27], v[28:29], v[148:149]
	v_lshl_add_u64 v[28:29], v[38:39], 0, s[2:3]
	v_add_co_u32_e64 v30, s[2:3], s17, v38
	v_add_f64 v[20:21], v[140:141], -v[20:21]
	s_nop 0
	v_addc_co_u32_e64 v31, s[2:3], 0, v39, s[2:3]
	global_load_dwordx4 v[168:171], v[30:31], off offset:768
	global_load_dwordx4 v[164:167], v[28:29], off offset:32
	;; [unrolled: 1-line block ×3, first 2 shown]
	s_mov_b64 s[2:3], 0x4950
	v_add_f64 v[24:25], v[16:17], -v[24:25]
	v_fma_f64 v[48:49], v[140:141], 2.0, -v[20:21]
	v_fma_f64 v[16:17], v[16:17], 2.0, -v[24:25]
	v_add_f64 v[22:23], v[142:143], -v[22:23]
	v_add_f64 v[26:27], v[18:19], -v[26:27]
	;; [unrolled: 1-line block ×4, first 2 shown]
	v_add_f64 v[218:219], v[22:23], v[24:25]
	v_fma_f64 v[50:51], v[142:143], 2.0, -v[22:23]
	v_fma_f64 v[18:19], v[18:19], 2.0, -v[26:27]
	;; [unrolled: 1-line block ×3, first 2 shown]
	v_add_f64 v[210:211], v[50:51], -v[18:19]
	v_fma_f64 v[214:215], v[22:23], 2.0, -v[218:219]
	v_fma_f64 v[204:205], v[48:49], 2.0, -v[208:209]
	;; [unrolled: 1-line block ×3, first 2 shown]
	s_waitcnt vmcnt(2) lgkmcnt(10)
	v_mul_f64 v[28:29], v[94:95], v[170:171]
	v_mul_f64 v[30:31], v[92:93], v[170:171]
	s_waitcnt vmcnt(0) lgkmcnt(9)
	v_mul_f64 v[32:33], v[14:15], v[174:175]
	v_fma_f64 v[32:33], v[12:13], v[172:173], -v[32:33]
	v_mul_f64 v[12:13], v[12:13], v[174:175]
	v_fmac_f64_e32 v[12:13], v[14:15], v[172:173]
	s_waitcnt lgkmcnt(8)
	v_mul_f64 v[14:15], v[10:11], v[166:167]
	v_fma_f64 v[14:15], v[8:9], v[164:165], -v[14:15]
	v_mul_f64 v[8:9], v[8:9], v[166:167]
	v_fmac_f64_e32 v[8:9], v[10:11], v[164:165]
	v_lshl_add_u64 v[10:11], v[38:39], 0, s[2:3]
	v_add_co_u32_e64 v34, s[2:3], s16, v38
	v_fma_f64 v[28:29], v[92:93], v[168:169], -v[28:29]
	s_nop 0
	v_addc_co_u32_e64 v35, s[2:3], 0, v39, s[2:3]
	global_load_dwordx4 v[180:183], v[34:35], off offset:2384
	global_load_dwordx4 v[176:179], v[10:11], off offset:32
	;; [unrolled: 1-line block ×3, first 2 shown]
	s_mov_b64 s[2:3], 0x5fa0
	v_fmac_f64_e32 v[30:31], v[94:95], v[168:169]
	v_add_f64 v[16:17], v[68:69], -v[32:33]
	v_add_f64 v[12:13], v[70:71], -v[12:13]
	;; [unrolled: 1-line block ×4, first 2 shown]
	v_fma_f64 v[24:25], v[30:31], 2.0, -v[8:9]
	v_add_f64 v[232:233], v[16:17], -v[8:9]
	v_add_f64 v[234:235], v[12:13], v[14:15]
	v_fma_f64 v[20:21], v[70:71], 2.0, -v[12:13]
	v_fma_f64 v[230:231], v[12:13], 2.0, -v[234:235]
	;; [unrolled: 1-line block ×5, first 2 shown]
	v_add_f64 v[224:225], v[18:19], -v[22:23]
	v_add_f64 v[226:227], v[20:21], -v[24:25]
	v_fma_f64 v[220:221], v[18:19], 2.0, -v[224:225]
	v_fma_f64 v[222:223], v[20:21], 2.0, -v[226:227]
	s_waitcnt vmcnt(2) lgkmcnt(6)
	v_mul_f64 v[10:11], v[86:87], v[182:183]
	v_fma_f64 v[10:11], v[84:85], v[180:181], -v[10:11]
	s_waitcnt vmcnt(0) lgkmcnt(5)
	v_mul_f64 v[36:37], v[6:7], v[186:187]
	v_fma_f64 v[36:37], v[4:5], v[184:185], -v[36:37]
	v_mul_f64 v[4:5], v[4:5], v[186:187]
	v_fmac_f64_e32 v[4:5], v[6:7], v[184:185]
	s_waitcnt lgkmcnt(4)
	v_mul_f64 v[6:7], v[2:3], v[178:179]
	v_fma_f64 v[6:7], v[0:1], v[176:177], -v[6:7]
	v_mul_f64 v[0:1], v[0:1], v[178:179]
	v_fmac_f64_e32 v[0:1], v[2:3], v[176:177]
	v_lshl_add_u64 v[2:3], v[38:39], 0, s[2:3]
	v_add_co_u32_e64 v38, s[2:3], s18, v38
	v_mul_f64 v[34:35], v[84:85], v[182:183]
	s_nop 0
	v_addc_co_u32_e64 v39, s[2:3], 0, v39, s[2:3]
	global_load_dwordx4 v[192:195], v[38:39], off offset:4000
	global_load_dwordx4 v[188:191], v[2:3], off offset:32
	;; [unrolled: 1-line block ×3, first 2 shown]
	v_fmac_f64_e32 v[34:35], v[86:87], v[180:181]
	v_add_f64 v[8:9], v[136:137], -v[36:37]
	v_add_f64 v[6:7], v[10:11], -v[6:7]
	;; [unrolled: 1-line block ×3, first 2 shown]
	v_fma_f64 v[12:13], v[136:137], 2.0, -v[8:9]
	v_add_f64 v[0:1], v[34:35], -v[0:1]
	v_fma_f64 v[10:11], v[10:11], 2.0, -v[6:7]
	v_fma_f64 v[14:15], v[138:139], 2.0, -v[4:5]
	;; [unrolled: 1-line block ×3, first 2 shown]
	v_add_f64 v[240:241], v[12:13], -v[10:11]
	v_add_f64 v[250:251], v[4:5], v[6:7]
	v_add_f64 v[242:243], v[14:15], -v[16:17]
	v_fma_f64 v[236:237], v[12:13], 2.0, -v[240:241]
	v_add_f64 v[248:249], v[8:9], -v[0:1]
	v_fma_f64 v[246:247], v[4:5], 2.0, -v[250:251]
	v_fma_f64 v[238:239], v[14:15], 2.0, -v[242:243]
	;; [unrolled: 1-line block ×3, first 2 shown]
	s_waitcnt vmcnt(2) lgkmcnt(2)
	v_mul_f64 v[2:3], v[162:163], v[194:195]
	v_mul_f64 v[38:39], v[160:161], v[194:195]
	s_waitcnt vmcnt(0) lgkmcnt(1)
	v_mul_f64 v[40:41], v[146:147], v[198:199]
	v_mul_f64 v[42:43], v[144:145], v[198:199]
	s_waitcnt lgkmcnt(0)
	v_mul_f64 v[44:45], v[74:75], v[190:191]
	v_mul_f64 v[46:47], v[72:73], v[190:191]
	v_fma_f64 v[2:3], v[160:161], v[192:193], -v[2:3]
	v_fmac_f64_e32 v[38:39], v[162:163], v[192:193]
	v_fma_f64 v[40:41], v[144:145], v[196:197], -v[40:41]
	v_fmac_f64_e32 v[42:43], v[146:147], v[196:197]
	;; [unrolled: 2-line block ×3, first 2 shown]
	v_add_f64 v[0:1], v[64:65], -v[40:41]
	v_add_f64 v[4:5], v[66:67], -v[42:43]
	;; [unrolled: 1-line block ×4, first 2 shown]
	v_fma_f64 v[6:7], v[64:65], 2.0, -v[0:1]
	v_fma_f64 v[8:9], v[66:67], 2.0, -v[4:5]
	v_fma_f64 v[2:3], v[2:3], 2.0, -v[10:11]
	v_fma_f64 v[14:15], v[38:39], 2.0, -v[12:13]
	v_add_f64 v[136:137], v[6:7], -v[2:3]
	v_add_f64 v[138:139], v[8:9], -v[14:15]
	v_add_f64 v[144:145], v[0:1], -v[12:13]
	v_add_f64 v[146:147], v[4:5], v[10:11]
	v_fma_f64 v[252:253], v[6:7], 2.0, -v[136:137]
	v_fma_f64 v[254:255], v[8:9], 2.0, -v[138:139]
	;; [unrolled: 1-line block ×4, first 2 shown]
	ds_write_b128 v80, v[204:207]
	ds_write_b128 v80, v[212:215] offset:7616
	ds_write_b128 v80, v[208:211] offset:15232
	;; [unrolled: 1-line block ×15, first 2 shown]
	s_waitcnt lgkmcnt(0)
	s_barrier
	s_and_saveexec_b64 s[10:11], vcc
	s_cbranch_execz .LBB0_13
; %bb.12:
	s_add_u32 s14, s8, 0x7700
	s_addc_u32 s15, s9, 0
	global_load_dwordx4 v[6:9], v76, s[14:15]
	ds_read_b128 v[0:3], v80
	v_mov_b32_e32 v77, 0
	v_lshl_add_u64 v[4:5], s[14:15], 0, v[76:77]
	v_add_co_u32_e64 v14, s[2:3], s19, v4
	s_waitcnt vmcnt(0) lgkmcnt(0)
	v_mul_f64 v[10:11], v[2:3], v[8:9]
	v_mul_f64 v[12:13], v[0:1], v[8:9]
	v_fma_f64 v[10:11], v[0:1], v[6:7], -v[10:11]
	v_fmac_f64_e32 v[12:13], v[2:3], v[6:7]
	ds_write_b128 v80, v[10:13]
	ds_read_b128 v[0:3], v76 offset:1792
	global_load_dwordx4 v[6:9], v76, s[14:15] offset:1792
	v_addc_co_u32_e64 v15, s[2:3], 0, v5, s[2:3]
	s_movk_i32 s2, 0x2000
	s_waitcnt vmcnt(0) lgkmcnt(0)
	v_mul_f64 v[10:11], v[2:3], v[8:9]
	v_mul_f64 v[12:13], v[0:1], v[8:9]
	v_fma_f64 v[10:11], v[0:1], v[6:7], -v[10:11]
	v_fmac_f64_e32 v[12:13], v[2:3], v[6:7]
	ds_read_b128 v[0:3], v76 offset:3584
	global_load_dwordx4 v[6:9], v76, s[14:15] offset:3584
	ds_write_b128 v76, v[10:13] offset:1792
	s_waitcnt vmcnt(0) lgkmcnt(1)
	v_mul_f64 v[10:11], v[2:3], v[8:9]
	v_mul_f64 v[12:13], v[0:1], v[8:9]
	v_fma_f64 v[10:11], v[0:1], v[6:7], -v[10:11]
	v_fmac_f64_e32 v[12:13], v[2:3], v[6:7]
	global_load_dwordx4 v[6:9], v[14:15], off offset:1280
	ds_read_b128 v[0:3], v76 offset:5376
	ds_write_b128 v76, v[10:13] offset:3584
	s_waitcnt vmcnt(0) lgkmcnt(1)
	v_mul_f64 v[10:11], v[2:3], v[8:9]
	v_mul_f64 v[12:13], v[0:1], v[8:9]
	v_fma_f64 v[10:11], v[0:1], v[6:7], -v[10:11]
	v_fmac_f64_e32 v[12:13], v[2:3], v[6:7]
	global_load_dwordx4 v[6:9], v[14:15], off offset:3072
	ds_read_b128 v[0:3], v76 offset:7168
	v_add_co_u32_e64 v14, s[2:3], s2, v4
	ds_write_b128 v76, v[10:13] offset:5376
	s_nop 0
	v_addc_co_u32_e64 v15, s[2:3], 0, v5, s[2:3]
	s_waitcnt vmcnt(0) lgkmcnt(1)
	v_mul_f64 v[10:11], v[2:3], v[8:9]
	v_mul_f64 v[12:13], v[0:1], v[8:9]
	v_fma_f64 v[10:11], v[0:1], v[6:7], -v[10:11]
	v_fmac_f64_e32 v[12:13], v[2:3], v[6:7]
	global_load_dwordx4 v[6:9], v[14:15], off offset:768
	ds_read_b128 v[0:3], v76 offset:8960
	ds_write_b128 v76, v[10:13] offset:7168
	s_waitcnt vmcnt(0) lgkmcnt(1)
	v_mul_f64 v[10:11], v[2:3], v[8:9]
	v_mul_f64 v[12:13], v[0:1], v[8:9]
	v_fma_f64 v[10:11], v[0:1], v[6:7], -v[10:11]
	v_fmac_f64_e32 v[12:13], v[2:3], v[6:7]
	global_load_dwordx4 v[6:9], v[14:15], off offset:2560
	ds_read_b128 v[0:3], v76 offset:10752
	v_add_co_u32_e64 v14, s[2:3], s17, v4
	ds_write_b128 v76, v[10:13] offset:8960
	s_nop 0
	v_addc_co_u32_e64 v15, s[2:3], 0, v5, s[2:3]
	s_waitcnt vmcnt(0) lgkmcnt(1)
	v_mul_f64 v[10:11], v[2:3], v[8:9]
	v_mul_f64 v[12:13], v[0:1], v[8:9]
	v_fma_f64 v[10:11], v[0:1], v[6:7], -v[10:11]
	v_fmac_f64_e32 v[12:13], v[2:3], v[6:7]
	global_load_dwordx4 v[6:9], v[14:15], off offset:256
	ds_read_b128 v[0:3], v76 offset:12544
	ds_write_b128 v76, v[10:13] offset:10752
	s_waitcnt vmcnt(0) lgkmcnt(1)
	v_mul_f64 v[10:11], v[2:3], v[8:9]
	v_mul_f64 v[12:13], v[0:1], v[8:9]
	v_fma_f64 v[10:11], v[0:1], v[6:7], -v[10:11]
	v_fmac_f64_e32 v[12:13], v[2:3], v[6:7]
	v_or_b32_e32 v6, 0x3800, v76
	global_load_dwordx4 v[6:9], v6, s[14:15]
	ds_read_b128 v[0:3], v76 offset:14336
	ds_write_b128 v76, v[10:13] offset:12544
	s_waitcnt vmcnt(0) lgkmcnt(1)
	v_mul_f64 v[10:11], v[2:3], v[8:9]
	v_mul_f64 v[12:13], v[0:1], v[8:9]
	v_fma_f64 v[10:11], v[0:1], v[6:7], -v[10:11]
	v_fmac_f64_e32 v[12:13], v[2:3], v[6:7]
	global_load_dwordx4 v[6:9], v[14:15], off offset:3840
	ds_read_b128 v[0:3], v76 offset:16128
	v_add_co_u32_e64 v14, s[2:3], s16, v4
	ds_write_b128 v76, v[10:13] offset:14336
	s_nop 0
	v_addc_co_u32_e64 v15, s[2:3], 0, v5, s[2:3]
	s_waitcnt vmcnt(0) lgkmcnt(1)
	v_mul_f64 v[10:11], v[2:3], v[8:9]
	v_mul_f64 v[12:13], v[0:1], v[8:9]
	v_fma_f64 v[10:11], v[0:1], v[6:7], -v[10:11]
	v_fmac_f64_e32 v[12:13], v[2:3], v[6:7]
	global_load_dwordx4 v[6:9], v[14:15], off offset:1536
	ds_read_b128 v[0:3], v76 offset:17920
	ds_write_b128 v76, v[10:13] offset:16128
	s_waitcnt vmcnt(0) lgkmcnt(1)
	v_mul_f64 v[10:11], v[2:3], v[8:9]
	v_mul_f64 v[12:13], v[0:1], v[8:9]
	v_fma_f64 v[10:11], v[0:1], v[6:7], -v[10:11]
	v_fmac_f64_e32 v[12:13], v[2:3], v[6:7]
	global_load_dwordx4 v[6:9], v[14:15], off offset:3328
	ds_read_b128 v[0:3], v76 offset:19712
	v_add_co_u32_e64 v14, s[2:3], s18, v4
	ds_write_b128 v76, v[10:13] offset:17920
	s_nop 0
	v_addc_co_u32_e64 v15, s[2:3], 0, v5, s[2:3]
	s_movk_i32 s2, 0x6000
	s_waitcnt vmcnt(0) lgkmcnt(1)
	v_mul_f64 v[10:11], v[2:3], v[8:9]
	v_mul_f64 v[12:13], v[0:1], v[8:9]
	v_fma_f64 v[10:11], v[0:1], v[6:7], -v[10:11]
	v_fmac_f64_e32 v[12:13], v[2:3], v[6:7]
	global_load_dwordx4 v[6:9], v[14:15], off offset:1024
	ds_read_b128 v[0:3], v76 offset:21504
	ds_write_b128 v76, v[10:13] offset:19712
	s_waitcnt vmcnt(0) lgkmcnt(1)
	v_mul_f64 v[10:11], v[2:3], v[8:9]
	v_mul_f64 v[12:13], v[0:1], v[8:9]
	v_fma_f64 v[10:11], v[0:1], v[6:7], -v[10:11]
	v_fmac_f64_e32 v[12:13], v[2:3], v[6:7]
	global_load_dwordx4 v[6:9], v[14:15], off offset:2816
	ds_read_b128 v[0:3], v76 offset:23296
	ds_write_b128 v76, v[10:13] offset:21504
	s_waitcnt vmcnt(0) lgkmcnt(1)
	v_mul_f64 v[10:11], v[2:3], v[8:9]
	v_mul_f64 v[12:13], v[0:1], v[8:9]
	v_fma_f64 v[10:11], v[0:1], v[6:7], -v[10:11]
	v_fmac_f64_e32 v[12:13], v[2:3], v[6:7]
	ds_write_b128 v76, v[10:13] offset:23296
	v_add_co_u32_e64 v12, s[2:3], s2, v4
	ds_read_b128 v[0:3], v76 offset:25088
	s_nop 0
	v_addc_co_u32_e64 v13, s[2:3], 0, v5, s[2:3]
	global_load_dwordx4 v[4:7], v[12:13], off offset:512
	s_waitcnt vmcnt(0) lgkmcnt(0)
	v_mul_f64 v[8:9], v[2:3], v[6:7]
	v_mul_f64 v[10:11], v[0:1], v[6:7]
	v_fma_f64 v[8:9], v[0:1], v[4:5], -v[8:9]
	v_fmac_f64_e32 v[10:11], v[2:3], v[4:5]
	global_load_dwordx4 v[4:7], v[12:13], off offset:2304
	ds_read_b128 v[0:3], v76 offset:26880
	ds_write_b128 v76, v[8:11] offset:25088
	s_waitcnt vmcnt(0) lgkmcnt(1)
	v_mul_f64 v[8:9], v[2:3], v[6:7]
	v_mul_f64 v[10:11], v[0:1], v[6:7]
	v_fma_f64 v[8:9], v[0:1], v[4:5], -v[8:9]
	v_fmac_f64_e32 v[10:11], v[2:3], v[4:5]
	v_or_b32_e32 v4, 0x7000, v76
	global_load_dwordx4 v[4:7], v4, s[14:15]
	ds_read_b128 v[0:3], v76 offset:28672
	ds_write_b128 v76, v[8:11] offset:26880
	s_waitcnt vmcnt(0) lgkmcnt(1)
	v_mul_f64 v[8:9], v[2:3], v[6:7]
	v_mul_f64 v[10:11], v[0:1], v[6:7]
	v_fma_f64 v[8:9], v[0:1], v[4:5], -v[8:9]
	v_fmac_f64_e32 v[10:11], v[2:3], v[4:5]
	ds_write_b128 v76, v[8:11] offset:28672
.LBB0_13:
	s_or_b64 exec, exec, s[10:11]
	s_waitcnt lgkmcnt(0)
	s_barrier
	s_and_saveexec_b64 s[2:3], vcc
	s_cbranch_execz .LBB0_15
; %bb.14:
	ds_read_b128 v[204:207], v80
	ds_read_b128 v[212:215], v80 offset:1792
	ds_read_b128 v[208:211], v80 offset:3584
	;; [unrolled: 1-line block ×16, first 2 shown]
.LBB0_15:
	s_or_b64 exec, exec, s[2:3]
	s_mov_b32 s42, 0x5d8e7cdc
	s_waitcnt lgkmcnt(0)
	v_add_f64 v[16:17], v[214:215], -v[202:203]
	s_mov_b32 s10, 0x370991
	s_mov_b32 s43, 0xbfd71e95
	;; [unrolled: 1-line block ×3, first 2 shown]
	v_add_f64 v[78:79], v[200:201], v[212:213]
	v_add_f64 v[66:67], v[202:203], v[214:215]
	s_mov_b32 s11, 0x3fedd6d0
	v_mul_f64 v[6:7], v[16:17], s[42:43]
	v_add_f64 v[26:27], v[210:211], -v[146:147]
	s_mov_b32 s14, 0x75d4884
	s_mov_b32 s21, 0xbfe58eea
	v_add_f64 v[30:31], v[212:213], -v[200:201]
	v_mul_f64 v[8:9], v[66:67], s[10:11]
	v_fma_f64 v[0:1], v[78:79], s[10:11], -v[6:7]
	v_add_f64 v[64:65], v[144:145], v[208:209]
	v_add_f64 v[70:71], v[146:147], v[210:211]
	s_mov_b32 s15, 0x3fe7a5f6
	v_mul_f64 v[10:11], v[26:27], s[20:21]
	s_mov_b32 s24, 0x7c9e640b
	v_add_f64 v[0:1], v[204:205], v[0:1]
	v_fma_f64 v[2:3], s[42:43], v[30:31], v[8:9]
	v_add_f64 v[18:19], v[208:209], -v[144:145]
	v_mul_f64 v[12:13], v[70:71], s[14:15]
	v_fma_f64 v[4:5], v[64:65], s[14:15], -v[10:11]
	v_add_f64 v[32:33], v[218:219], -v[138:139]
	s_mov_b32 s16, 0x2b2883cd
	s_mov_b32 s25, 0xbfeca52d
	v_add_f64 v[2:3], v[206:207], v[2:3]
	v_add_f64 v[0:1], v[4:5], v[0:1]
	v_fma_f64 v[4:5], s[20:21], v[18:19], v[12:13]
	v_add_f64 v[68:69], v[216:217], v[136:137]
	v_add_f64 v[74:75], v[218:219], v[138:139]
	s_mov_b32 s17, 0x3fdc86fa
	v_mul_f64 v[14:15], v[32:33], s[24:25]
	s_mov_b32 s26, 0xeb564b22
	v_add_f64 v[2:3], v[4:5], v[2:3]
	v_add_f64 v[24:25], v[216:217], -v[136:137]
	v_mul_f64 v[48:49], v[74:75], s[16:17]
	v_fma_f64 v[4:5], v[68:69], s[16:17], -v[14:15]
	v_add_f64 v[46:47], v[222:223], -v[142:143]
	s_mov_b32 s18, 0x3259b75e
	s_mov_b32 s27, 0xbfefdd0d
	v_add_f64 v[0:1], v[4:5], v[0:1]
	v_fma_f64 v[4:5], s[24:25], v[24:25], v[48:49]
	v_add_f64 v[72:73], v[220:221], v[140:141]
	v_add_f64 v[22:23], v[222:223], v[142:143]
	s_mov_b32 s19, 0x3fb79ee6
	v_mul_f64 v[82:83], v[46:47], s[26:27]
	s_mov_b32 s30, 0x923c349f
	v_add_f64 v[2:3], v[4:5], v[2:3]
	v_add_f64 v[86:87], v[220:221], -v[140:141]
	v_mul_f64 v[88:89], v[22:23], s[18:19]
	v_fma_f64 v[4:5], v[72:73], s[18:19], -v[82:83]
	v_add_f64 v[36:37], v[230:231], -v[254:255]
	s_mov_b32 s22, 0xc61f0d01
	s_mov_b32 s31, 0xbfeec746
	;; [unrolled: 14-line block ×4, first 2 shown]
	v_add_f64 v[0:1], v[4:5], v[0:1]
	v_fma_f64 v[4:5], s[36:37], v[42:43], v[96:97]
	v_add_f64 v[40:41], v[232:233], v[240:241]
	v_add_f64 v[54:55], v[234:235], v[242:243]
	s_mov_b32 s35, 0xbfeb34fa
	v_mul_f64 v[124:125], v[62:63], s[40:41]
	v_add_f64 v[2:3], v[4:5], v[2:3]
	v_add_f64 v[50:51], v[232:233], -v[240:241]
	v_mul_f64 v[126:127], v[54:55], s[34:35]
	v_fma_f64 v[4:5], v[40:41], s[34:35], -v[124:125]
	s_mov_b32 s44, 0xacd6c6b4
	v_add_f64 v[0:1], v[4:5], v[0:1]
	v_fma_f64 v[4:5], s[40:41], v[50:51], v[126:127]
	v_add_f64 v[38:39], v[238:239], -v[246:247]
	s_mov_b32 s45, 0xbfc7851a
	v_add_f64 v[2:3], v[4:5], v[2:3]
	s_mov_b32 s38, 0x7faef3
	v_mul_f64 v[4:5], v[38:39], s[44:45]
	v_add_f64 v[52:53], v[236:237], v[244:245]
	v_add_f64 v[60:61], v[238:239], v[246:247]
	s_mov_b32 s39, 0xbfef7484
	v_accvgpr_write_b32 a169, v5
	v_add_f64 v[56:57], v[236:237], -v[244:245]
	v_mul_f64 v[162:163], v[60:61], s[38:39]
	v_accvgpr_write_b32 a168, v4
	v_fma_f64 v[4:5], v[52:53], s[38:39], -v[4:5]
	v_add_f64 v[160:161], v[4:5], v[0:1]
	v_accvgpr_write_b32 a175, v163
	v_fma_f64 v[0:1], s[44:45], v[56:57], v[162:163]
	v_accvgpr_write_b32 a174, v162
	v_add_f64 v[162:163], v[0:1], v[2:3]
	s_barrier
	s_and_saveexec_b64 s[2:3], vcc
	s_cbranch_execz .LBB0_17
; %bb.16:
	v_accvgpr_write_b32 a147, v111
	s_mov_b32 s49, 0x3fd71e95
	s_mov_b32 s48, s42
	v_accvgpr_write_b32 a199, v97
	v_accvgpr_write_b32 a146, v110
	;; [unrolled: 1-line block ×4, first 2 shown]
	v_mul_f64 v[108:109], v[30:31], s[44:45]
	v_accvgpr_write_b32 a197, v93
	v_accvgpr_write_b32 a198, v96
	v_mul_f64 v[96:97], v[18:19], s[48:49]
	v_fma_f64 v[110:111], s[38:39], v[66:67], v[108:109]
	v_accvgpr_write_b32 a80, v112
	s_mov_b32 s51, 0x3fe58eea
	s_mov_b32 s50, s20
	v_accvgpr_write_b32 a195, v89
	v_accvgpr_write_b32 a196, v92
	v_mul_f64 v[92:93], v[24:25], s[40:41]
	v_accvgpr_write_b32 a185, v95
	v_accvgpr_write_b32 a91, v98
	;; [unrolled: 1-line block ×3, first 2 shown]
	v_fma_f64 v[98:99], s[10:11], v[70:71], v[96:97]
	v_add_f64 v[110:111], v[206:207], v[110:111]
	v_accvgpr_write_b32 a76, v104
	v_accvgpr_write_b32 a81, v113
	;; [unrolled: 1-line block ×4, first 2 shown]
	v_mul_f64 v[112:113], v[16:17], s[44:45]
	v_accvgpr_write_b32 a189, v13
	v_accvgpr_write_b32 a194, v88
	v_mul_f64 v[88:89], v[86:87], s[50:51]
	v_accvgpr_write_b32 a183, v91
	v_accvgpr_write_b32 a184, v94
	v_fma_f64 v[94:95], s[34:35], v[74:75], v[92:93]
	v_add_f64 v[98:99], v[98:99], v[110:111]
	v_accvgpr_write_b32 a72, v100
	v_accvgpr_write_b32 a77, v105
	v_accvgpr_write_b32 a78, v106
	v_accvgpr_write_b32 a79, v107
	v_mul_f64 v[106:107], v[26:27], s[48:49]
	v_accvgpr_write_b32 a207, v49
	v_fma_f64 v[114:115], v[78:79], s[38:39], -v[112:113]
	s_mov_b32 s47, 0x3feca52d
	s_mov_b32 s46, s24
	v_accvgpr_write_b32 a187, v9
	v_accvgpr_write_b32 a188, v12
	v_mul_f64 v[12:13], v[34:35], s[36:37]
	v_accvgpr_write_b32 a181, v15
	v_accvgpr_write_b32 a182, v90
	v_fma_f64 v[90:91], s[14:15], v[22:23], v[88:89]
	v_add_f64 v[94:95], v[94:95], v[98:99]
	v_accvgpr_write_b32 a201, v83
	v_accvgpr_write_b32 a73, v101
	;; [unrolled: 1-line block ×4, first 2 shown]
	v_mul_f64 v[102:103], v[32:33], s[40:41]
	v_accvgpr_write_b32 a206, v48
	v_fma_f64 v[48:49], v[64:65], s[10:11], -v[106:107]
	v_add_f64 v[114:115], v[204:205], v[114:115]
	v_accvgpr_write_b32 a186, v8
	v_mul_f64 v[8:9], v[42:43], s[46:47]
	v_accvgpr_write_b32 a179, v11
	v_accvgpr_write_b32 a180, v14
	v_fma_f64 v[14:15], s[28:29], v[84:85], v[12:13]
	v_add_f64 v[90:91], v[90:91], v[94:95]
	v_accvgpr_write_b32 a200, v82
	v_mul_f64 v[82:83], v[46:47], s[50:51]
	v_fma_f64 v[104:105], v[68:69], s[34:35], -v[102:103]
	v_add_f64 v[48:49], v[48:49], v[114:115]
	s_mov_b32 s57, 0x3fefdd0d
	s_mov_b32 s56, s26
	v_mul_f64 v[4:5], v[50:51], s[30:31]
	v_accvgpr_write_b32 a177, v7
	v_accvgpr_write_b32 a178, v10
	v_fma_f64 v[10:11], s[16:17], v[44:45], v[8:9]
	v_add_f64 v[14:15], v[14:15], v[90:91]
	v_mul_f64 v[98:99], v[36:37], s[36:37]
	v_fma_f64 v[100:101], v[72:73], s[14:15], -v[82:83]
	v_add_f64 v[48:49], v[104:105], v[48:49]
	v_mul_f64 v[0:1], v[56:57], s[56:57]
	v_accvgpr_write_b32 a176, v6
	v_fma_f64 v[6:7], s[22:23], v[54:55], v[4:5]
	v_add_f64 v[10:11], v[10:11], v[14:15]
	v_mul_f64 v[90:91], v[58:59], s[46:47]
	v_fma_f64 v[110:111], v[20:21], s[28:29], -v[98:99]
	v_add_f64 v[48:49], v[100:101], v[48:49]
	v_fma_f64 v[2:3], s[18:19], v[60:61], v[0:1]
	v_add_f64 v[6:7], v[6:7], v[10:11]
	v_accvgpr_write_b32 a203, v127
	v_mul_f64 v[10:11], v[62:63], s[30:31]
	v_fma_f64 v[94:95], v[28:29], s[16:17], -v[90:91]
	v_add_f64 v[48:49], v[110:111], v[48:49]
	v_accvgpr_write_b32 a202, v126
	v_add_f64 v[126:127], v[2:3], v[6:7]
	v_mul_f64 v[2:3], v[38:39], s[56:57]
	v_fma_f64 v[14:15], v[40:41], s[22:23], -v[10:11]
	v_add_f64 v[48:49], v[94:95], v[48:49]
	v_fma_f64 v[6:7], v[52:53], s[18:19], -v[2:3]
	v_add_f64 v[14:15], v[14:15], v[48:49]
	v_accvgpr_write_b32 a205, v125
	v_accvgpr_write_b32 a204, v124
	v_add_f64 v[124:125], v[6:7], v[14:15]
	v_fma_f64 v[6:7], v[44:45], s[16:17], -v[8:9]
	v_fma_f64 v[8:9], v[84:85], s[28:29], -v[12:13]
	;; [unrolled: 1-line block ×5, first 2 shown]
	v_add_f64 v[88:89], v[206:207], v[88:89]
	v_fma_f64 v[14:15], v[74:75], s[34:35], -v[92:93]
	v_add_f64 v[48:49], v[48:49], v[88:89]
	v_add_f64 v[14:15], v[14:15], v[48:49]
	;; [unrolled: 1-line block ×4, first 2 shown]
	v_fma_f64 v[4:5], v[54:55], s[22:23], -v[4:5]
	v_add_f64 v[6:7], v[6:7], v[8:9]
	v_fma_f64 v[0:1], v[60:61], s[18:19], -v[0:1]
	v_add_f64 v[4:5], v[4:5], v[6:7]
	v_fmac_f64_e32 v[112:113], s[38:39], v[78:79]
	v_add_f64 v[4:5], v[0:1], v[4:5]
	v_fmac_f64_e32 v[106:107], s[10:11], v[64:65]
	;; [unrolled: 2-line block ×5, first 2 shown]
	v_add_f64 v[0:1], v[82:83], v[0:1]
	v_mul_f64 v[96:97], v[30:31], s[40:41]
	v_add_f64 v[0:1], v[98:99], v[0:1]
	v_mul_f64 v[92:93], v[18:19], s[46:47]
	v_fma_f64 v[98:99], s[34:35], v[66:67], v[96:97]
	v_fmac_f64_e32 v[90:91], s[16:17], v[28:29]
	s_mov_b32 s59, 0x3fe9895b
	s_mov_b32 s58, s36
	v_mul_f64 v[88:89], v[24:25], s[26:27]
	v_fma_f64 v[94:95], s[16:17], v[70:71], v[92:93]
	v_add_f64 v[98:99], v[206:207], v[98:99]
	v_mul_f64 v[112:113], v[16:17], s[40:41]
	v_fmac_f64_e32 v[10:11], s[22:23], v[40:41]
	v_add_f64 v[0:1], v[90:91], v[0:1]
	v_mul_f64 v[48:49], v[86:87], s[58:59]
	v_fma_f64 v[90:91], s[18:19], v[74:75], v[88:89]
	v_add_f64 v[94:95], v[94:95], v[98:99]
	v_mul_f64 v[108:109], v[26:27], s[46:47]
	v_fma_f64 v[114:115], v[78:79], s[34:35], -v[112:113]
	v_fmac_f64_e32 v[2:3], s[18:19], v[52:53]
	v_add_f64 v[0:1], v[10:11], v[0:1]
	v_mul_f64 v[12:13], v[34:35], s[42:43]
	v_fma_f64 v[82:83], s[28:29], v[22:23], v[48:49]
	v_add_f64 v[90:91], v[90:91], v[94:95]
	v_mul_f64 v[104:105], v[32:33], s[26:27]
	v_fma_f64 v[110:111], v[64:65], s[16:17], -v[108:109]
	v_add_f64 v[114:115], v[204:205], v[114:115]
	v_add_f64 v[2:3], v[2:3], v[0:1]
	v_accvgpr_write_b32 a173, v5
	v_mul_f64 v[8:9], v[42:43], s[44:45]
	v_fma_f64 v[14:15], s[10:11], v[84:85], v[12:13]
	v_add_f64 v[82:83], v[82:83], v[90:91]
	v_mul_f64 v[100:101], v[46:47], s[58:59]
	v_fma_f64 v[106:107], v[68:69], s[18:19], -v[104:105]
	v_add_f64 v[110:111], v[110:111], v[114:115]
	v_accvgpr_write_b32 a172, v4
	v_accvgpr_write_b32 a171, v3
	;; [unrolled: 1-line block ×3, first 2 shown]
	v_mul_f64 v[4:5], v[50:51], s[50:51]
	v_fma_f64 v[10:11], s[38:39], v[44:45], v[8:9]
	v_add_f64 v[14:15], v[14:15], v[82:83]
	v_mul_f64 v[94:95], v[36:37], s[42:43]
	v_fma_f64 v[102:103], v[72:73], s[28:29], -v[100:101]
	v_add_f64 v[106:107], v[106:107], v[110:111]
	v_mul_f64 v[0:1], v[56:57], s[30:31]
	v_fma_f64 v[6:7], s[14:15], v[54:55], v[4:5]
	v_add_f64 v[10:11], v[10:11], v[14:15]
	v_mul_f64 v[82:83], v[58:59], s[44:45]
	v_fma_f64 v[98:99], v[20:21], s[10:11], -v[94:95]
	v_add_f64 v[102:103], v[102:103], v[106:107]
	v_accvgpr_write_b32 a165, v127
	v_fma_f64 v[2:3], s[22:23], v[60:61], v[0:1]
	v_add_f64 v[6:7], v[6:7], v[10:11]
	v_mul_f64 v[10:11], v[62:63], s[50:51]
	v_fma_f64 v[90:91], v[28:29], s[38:39], -v[82:83]
	v_add_f64 v[98:99], v[98:99], v[102:103]
	v_accvgpr_write_b32 a164, v126
	v_accvgpr_write_b32 a163, v125
	;; [unrolled: 1-line block ×3, first 2 shown]
	v_add_f64 v[126:127], v[2:3], v[6:7]
	v_mul_f64 v[2:3], v[38:39], s[30:31]
	v_fma_f64 v[14:15], v[40:41], s[14:15], -v[10:11]
	v_add_f64 v[90:91], v[90:91], v[98:99]
	v_fma_f64 v[6:7], v[52:53], s[22:23], -v[2:3]
	v_add_f64 v[14:15], v[14:15], v[90:91]
	v_add_f64 v[124:125], v[6:7], v[14:15]
	v_fma_f64 v[14:15], v[74:75], s[18:19], -v[88:89]
	v_fma_f64 v[88:89], v[66:67], s[34:35], -v[96:97]
	;; [unrolled: 1-line block ×6, first 2 shown]
	v_add_f64 v[88:89], v[206:207], v[88:89]
	v_add_f64 v[48:49], v[48:49], v[88:89]
	;; [unrolled: 1-line block ×5, first 2 shown]
	v_fma_f64 v[4:5], v[54:55], s[14:15], -v[4:5]
	v_add_f64 v[6:7], v[6:7], v[8:9]
	v_fma_f64 v[0:1], v[60:61], s[22:23], -v[0:1]
	v_add_f64 v[4:5], v[4:5], v[6:7]
	v_fmac_f64_e32 v[112:113], s[34:35], v[78:79]
	v_add_f64 v[4:5], v[0:1], v[4:5]
	v_fmac_f64_e32 v[108:109], s[16:17], v[64:65]
	;; [unrolled: 2-line block ×4, first 2 shown]
	v_add_f64 v[0:1], v[104:105], v[0:1]
	s_mov_b32 s53, 0x3feec746
	s_mov_b32 s52, s30
	v_mul_f64 v[96:97], v[30:31], s[36:37]
	v_fmac_f64_e32 v[94:95], s[10:11], v[20:21]
	v_add_f64 v[0:1], v[100:101], v[0:1]
	v_mul_f64 v[92:93], v[18:19], s[52:53]
	v_fma_f64 v[98:99], s[28:29], v[66:67], v[96:97]
	v_fmac_f64_e32 v[82:83], s[38:39], v[28:29]
	v_add_f64 v[0:1], v[94:95], v[0:1]
	v_mul_f64 v[88:89], v[24:25], s[42:43]
	v_fma_f64 v[94:95], s[22:23], v[70:71], v[92:93]
	v_add_f64 v[98:99], v[206:207], v[98:99]
	v_mul_f64 v[112:113], v[16:17], s[36:37]
	v_fmac_f64_e32 v[10:11], s[14:15], v[40:41]
	v_add_f64 v[0:1], v[82:83], v[0:1]
	v_mul_f64 v[48:49], v[86:87], s[40:41]
	v_fma_f64 v[90:91], s[10:11], v[74:75], v[88:89]
	v_add_f64 v[94:95], v[94:95], v[98:99]
	v_mul_f64 v[108:109], v[26:27], s[52:53]
	v_fma_f64 v[114:115], v[78:79], s[28:29], -v[112:113]
	v_fmac_f64_e32 v[2:3], s[22:23], v[52:53]
	v_add_f64 v[0:1], v[10:11], v[0:1]
	v_mul_f64 v[12:13], v[34:35], s[56:57]
	v_fma_f64 v[82:83], s[34:35], v[22:23], v[48:49]
	v_add_f64 v[90:91], v[90:91], v[94:95]
	v_mul_f64 v[104:105], v[32:33], s[42:43]
	v_fma_f64 v[110:111], v[64:65], s[22:23], -v[108:109]
	v_add_f64 v[114:115], v[204:205], v[114:115]
	v_add_f64 v[2:3], v[2:3], v[0:1]
	v_accvgpr_write_b32 a211, v5
	v_mul_f64 v[8:9], v[42:43], s[20:21]
	v_fma_f64 v[14:15], s[18:19], v[84:85], v[12:13]
	v_add_f64 v[82:83], v[82:83], v[90:91]
	v_mul_f64 v[100:101], v[46:47], s[40:41]
	v_fma_f64 v[106:107], v[68:69], s[10:11], -v[104:105]
	v_add_f64 v[110:111], v[110:111], v[114:115]
	v_accvgpr_write_b32 a210, v4
	v_accvgpr_write_b32 a209, v3
	;; [unrolled: 1-line block ×3, first 2 shown]
	v_mul_f64 v[4:5], v[50:51], s[44:45]
	v_fma_f64 v[10:11], s[14:15], v[44:45], v[8:9]
	v_add_f64 v[14:15], v[14:15], v[82:83]
	v_mul_f64 v[98:99], v[36:37], s[56:57]
	v_fma_f64 v[102:103], v[72:73], s[34:35], -v[100:101]
	v_add_f64 v[106:107], v[106:107], v[110:111]
	v_mul_f64 v[0:1], v[56:57], s[46:47]
	v_fma_f64 v[6:7], s[38:39], v[54:55], v[4:5]
	v_add_f64 v[10:11], v[10:11], v[14:15]
	v_mul_f64 v[82:83], v[58:59], s[20:21]
	v_fma_f64 v[94:95], v[20:21], s[18:19], -v[98:99]
	v_add_f64 v[102:103], v[102:103], v[106:107]
	v_accvgpr_write_b32 a193, v127
	v_fma_f64 v[2:3], s[16:17], v[60:61], v[0:1]
	v_add_f64 v[6:7], v[6:7], v[10:11]
	v_mul_f64 v[10:11], v[62:63], s[44:45]
	v_fma_f64 v[90:91], v[28:29], s[14:15], -v[82:83]
	v_add_f64 v[94:95], v[94:95], v[102:103]
	v_accvgpr_write_b32 a192, v126
	v_accvgpr_write_b32 a191, v125
	;; [unrolled: 1-line block ×3, first 2 shown]
	v_add_f64 v[126:127], v[2:3], v[6:7]
	v_mul_f64 v[2:3], v[38:39], s[46:47]
	v_fma_f64 v[14:15], v[40:41], s[38:39], -v[10:11]
	v_add_f64 v[90:91], v[90:91], v[94:95]
	v_fma_f64 v[6:7], v[52:53], s[16:17], -v[2:3]
	v_add_f64 v[14:15], v[14:15], v[90:91]
	v_add_f64 v[124:125], v[6:7], v[14:15]
	v_fma_f64 v[14:15], v[74:75], s[10:11], -v[88:89]
	v_fma_f64 v[88:89], v[66:67], s[28:29], -v[96:97]
	v_fma_f64 v[6:7], v[44:45], s[14:15], -v[8:9]
	v_fma_f64 v[8:9], v[84:85], s[18:19], -v[12:13]
	v_fma_f64 v[12:13], v[22:23], s[34:35], -v[48:49]
	v_fma_f64 v[48:49], v[70:71], s[22:23], -v[92:93]
	v_add_f64 v[88:89], v[206:207], v[88:89]
	v_add_f64 v[48:49], v[48:49], v[88:89]
	;; [unrolled: 1-line block ×5, first 2 shown]
	v_fma_f64 v[4:5], v[54:55], s[38:39], -v[4:5]
	v_add_f64 v[6:7], v[6:7], v[8:9]
	v_fma_f64 v[0:1], v[60:61], s[16:17], -v[0:1]
	v_add_f64 v[4:5], v[4:5], v[6:7]
	v_fmac_f64_e32 v[112:113], s[28:29], v[78:79]
	v_add_f64 v[94:95], v[0:1], v[4:5]
	v_fmac_f64_e32 v[108:109], s[22:23], v[64:65]
	;; [unrolled: 2-line block ×4, first 2 shown]
	v_add_f64 v[0:1], v[104:105], v[0:1]
	v_add_f64 v[0:1], v[100:101], v[0:1]
	s_mov_b32 s55, 0x3fe0d888
	s_mov_b32 s54, s40
	v_mul_f64 v[100:101], v[30:31], s[30:31]
	v_fmac_f64_e32 v[98:99], s[18:19], v[20:21]
	v_mul_f64 v[96:97], v[18:19], s[54:55]
	v_fma_f64 v[102:103], s[22:23], v[66:67], v[100:101]
	v_accvgpr_write_b32 a100, v116
	v_add_f64 v[0:1], v[98:99], v[0:1]
	v_mul_f64 v[88:89], v[24:25], s[50:51]
	v_fma_f64 v[98:99], s[34:35], v[70:71], v[96:97]
	v_add_f64 v[102:103], v[206:207], v[102:103]
	v_accvgpr_write_b32 a101, v117
	v_accvgpr_write_b32 a102, v118
	;; [unrolled: 1-line block ×3, first 2 shown]
	v_mul_f64 v[116:117], v[16:17], s[30:31]
	v_fmac_f64_e32 v[82:83], s[14:15], v[28:29]
	v_mul_f64 v[48:49], v[86:87], s[24:25]
	v_fma_f64 v[90:91], s[14:15], v[74:75], v[88:89]
	v_add_f64 v[98:99], v[98:99], v[102:103]
	v_mul_f64 v[114:115], v[26:27], s[54:55]
	v_fma_f64 v[118:119], v[78:79], s[22:23], -v[116:117]
	v_add_f64 v[0:1], v[82:83], v[0:1]
	v_mul_f64 v[12:13], v[34:35], s[44:45]
	v_fma_f64 v[82:83], s[16:17], v[22:23], v[48:49]
	v_add_f64 v[90:91], v[90:91], v[98:99]
	v_mul_f64 v[112:113], v[32:33], s[50:51]
	v_fma_f64 v[108:109], v[64:65], s[34:35], -v[114:115]
	v_add_f64 v[118:119], v[204:205], v[118:119]
	v_fmac_f64_e32 v[10:11], s[38:39], v[40:41]
	v_mul_f64 v[8:9], v[42:43], s[56:57]
	v_fma_f64 v[14:15], s[38:39], v[84:85], v[12:13]
	v_add_f64 v[82:83], v[82:83], v[90:91]
	v_mul_f64 v[104:105], v[46:47], s[24:25]
	v_add_f64 v[108:109], v[108:109], v[118:119]
	v_fma_f64 v[118:119], v[68:69], s[14:15], -v[112:113]
	v_fmac_f64_e32 v[2:3], s[16:17], v[52:53]
	v_add_f64 v[0:1], v[10:11], v[0:1]
	v_mul_f64 v[4:5], v[50:51], s[42:43]
	v_fma_f64 v[10:11], s[18:19], v[44:45], v[8:9]
	v_add_f64 v[14:15], v[14:15], v[82:83]
	v_mul_f64 v[98:99], v[36:37], s[44:45]
	v_fma_f64 v[106:107], v[72:73], s[16:17], -v[104:105]
	v_add_f64 v[108:109], v[118:119], v[108:109]
	v_add_f64 v[92:93], v[2:3], v[0:1]
	v_mul_f64 v[0:1], v[56:57], s[36:37]
	v_fma_f64 v[6:7], s[10:11], v[54:55], v[4:5]
	v_add_f64 v[10:11], v[10:11], v[14:15]
	v_mul_f64 v[82:83], v[58:59], s[56:57]
	v_fma_f64 v[102:103], v[20:21], s[38:39], -v[98:99]
	v_add_f64 v[106:107], v[106:107], v[108:109]
	v_fma_f64 v[2:3], s[28:29], v[60:61], v[0:1]
	v_add_f64 v[6:7], v[6:7], v[10:11]
	v_mul_f64 v[10:11], v[62:63], s[42:43]
	v_fma_f64 v[90:91], v[28:29], s[18:19], -v[82:83]
	v_add_f64 v[102:103], v[102:103], v[106:107]
	v_add_f64 v[110:111], v[2:3], v[6:7]
	v_mul_f64 v[6:7], v[38:39], s[36:37]
	v_fma_f64 v[14:15], v[40:41], s[10:11], -v[10:11]
	v_add_f64 v[90:91], v[90:91], v[102:103]
	v_fma_f64 v[2:3], v[52:53], s[28:29], -v[6:7]
	v_add_f64 v[14:15], v[14:15], v[90:91]
	v_add_f64 v[108:109], v[2:3], v[14:15]
	v_fma_f64 v[14:15], v[74:75], s[14:15], -v[88:89]
	v_fma_f64 v[88:89], v[66:67], s[22:23], -v[100:101]
	;; [unrolled: 1-line block ×7, first 2 shown]
	v_add_f64 v[88:89], v[206:207], v[88:89]
	v_add_f64 v[48:49], v[48:49], v[88:89]
	;; [unrolled: 1-line block ×6, first 2 shown]
	v_fma_f64 v[0:1], v[60:61], s[28:29], -v[0:1]
	v_add_f64 v[2:3], v[2:3], v[4:5]
	v_fmac_f64_e32 v[116:117], s[22:23], v[78:79]
	v_add_f64 v[2:3], v[0:1], v[2:3]
	v_fmac_f64_e32 v[114:115], s[34:35], v[64:65]
	v_add_f64 v[0:1], v[204:205], v[116:117]
	v_fmac_f64_e32 v[112:113], s[14:15], v[68:69]
	v_add_f64 v[0:1], v[114:115], v[0:1]
	v_fmac_f64_e32 v[104:105], s[16:17], v[72:73]
	v_add_f64 v[0:1], v[112:113], v[0:1]
	v_add_f64 v[0:1], v[104:105], v[0:1]
	v_mul_f64 v[104:105], v[30:31], s[26:27]
	v_mul_f64 v[100:101], v[18:19], s[44:45]
	v_fma_f64 v[106:107], s[18:19], v[66:67], v[104:105]
	v_fma_f64 v[104:105], v[66:67], s[18:19], -v[104:105]
	v_fmac_f64_e32 v[98:99], s[38:39], v[20:21]
	v_mul_f64 v[96:97], v[24:25], s[52:53]
	v_fma_f64 v[102:103], s[38:39], v[70:71], v[100:101]
	v_mul_f64 v[116:117], v[16:17], s[26:27]
	v_fma_f64 v[100:101], v[70:71], s[38:39], -v[100:101]
	v_add_f64 v[104:105], v[206:207], v[104:105]
	v_add_f64 v[0:1], v[98:99], v[0:1]
	v_mul_f64 v[88:89], v[86:87], s[48:49]
	v_fma_f64 v[98:99], s[22:23], v[74:75], v[96:97]
	v_add_f64 v[106:107], v[206:207], v[106:107]
	v_mul_f64 v[112:113], v[26:27], s[44:45]
	v_fma_f64 v[118:119], v[78:79], s[18:19], -v[116:117]
	v_fma_f64 v[96:97], v[74:75], s[22:23], -v[96:97]
	v_add_f64 v[100:101], v[100:101], v[104:105]
	v_fmac_f64_e32 v[82:83], s[18:19], v[28:29]
	v_mul_f64 v[48:49], v[34:35], s[24:25]
	v_fma_f64 v[90:91], s[10:11], v[22:23], v[88:89]
	v_add_f64 v[102:103], v[102:103], v[106:107]
	v_mul_f64 v[106:107], v[32:33], s[52:53]
	v_fma_f64 v[114:115], v[64:65], s[38:39], -v[112:113]
	v_add_f64 v[118:119], v[204:205], v[118:119]
	v_fma_f64 v[88:89], v[22:23], s[10:11], -v[88:89]
	v_add_f64 v[96:97], v[96:97], v[100:101]
	v_fmac_f64_e32 v[10:11], s[10:11], v[40:41]
	v_add_f64 v[0:1], v[82:83], v[0:1]
	v_mul_f64 v[12:13], v[42:43], s[40:41]
	v_fma_f64 v[82:83], s[16:17], v[84:85], v[48:49]
	v_add_f64 v[98:99], v[98:99], v[102:103]
	v_mul_f64 v[102:103], v[46:47], s[48:49]
	v_add_f64 v[114:115], v[114:115], v[118:119]
	v_fma_f64 v[118:119], v[68:69], s[22:23], -v[106:107]
	v_fma_f64 v[48:49], v[84:85], s[16:17], -v[48:49]
	v_add_f64 v[88:89], v[88:89], v[96:97]
	v_fmac_f64_e32 v[6:7], s[28:29], v[52:53]
	v_add_f64 v[0:1], v[10:11], v[0:1]
	v_mul_f64 v[10:11], v[50:51], s[58:59]
	v_fma_f64 v[14:15], s[34:35], v[44:45], v[12:13]
	v_add_f64 v[90:91], v[90:91], v[98:99]
	v_mul_f64 v[98:99], v[36:37], s[24:25]
	v_add_f64 v[114:115], v[118:119], v[114:115]
	v_fma_f64 v[118:119], v[72:73], s[10:11], -v[102:103]
	v_fma_f64 v[12:13], v[44:45], s[34:35], -v[12:13]
	v_add_f64 v[48:49], v[48:49], v[88:89]
	v_add_f64 v[0:1], v[6:7], v[0:1]
	v_mul_f64 v[8:9], v[56:57], s[50:51]
	v_fma_f64 v[6:7], s[28:29], v[54:55], v[10:11]
	v_add_f64 v[82:83], v[82:83], v[90:91]
	v_mul_f64 v[90:91], v[58:59], s[40:41]
	v_add_f64 v[114:115], v[118:119], v[114:115]
	v_fma_f64 v[118:119], v[20:21], s[16:17], -v[98:99]
	v_fma_f64 v[10:11], v[54:55], s[28:29], -v[10:11]
	v_add_f64 v[12:13], v[12:13], v[48:49]
	v_fma_f64 v[4:5], s[14:15], v[60:61], v[8:9]
	v_add_f64 v[14:15], v[14:15], v[82:83]
	v_mul_f64 v[82:83], v[62:63], s[58:59]
	v_add_f64 v[114:115], v[118:119], v[114:115]
	v_fma_f64 v[118:119], v[28:29], s[34:35], -v[90:91]
	v_fma_f64 v[8:9], v[60:61], s[14:15], -v[8:9]
	v_add_f64 v[10:11], v[10:11], v[12:13]
	v_fmac_f64_e32 v[116:117], s[18:19], v[78:79]
	v_add_f64 v[6:7], v[6:7], v[14:15]
	v_mul_f64 v[14:15], v[38:39], s[50:51]
	v_add_f64 v[114:115], v[118:119], v[114:115]
	v_fma_f64 v[118:119], v[40:41], s[28:29], -v[82:83]
	v_add_f64 v[10:11], v[8:9], v[10:11]
	v_fmac_f64_e32 v[112:113], s[38:39], v[64:65]
	v_add_f64 v[8:9], v[204:205], v[116:117]
	v_add_f64 v[6:7], v[4:5], v[6:7]
	v_fma_f64 v[4:5], v[52:53], s[14:15], -v[14:15]
	v_add_f64 v[114:115], v[118:119], v[114:115]
	v_fmac_f64_e32 v[106:107], s[22:23], v[68:69]
	v_add_f64 v[8:9], v[112:113], v[8:9]
	v_mul_f64 v[112:113], v[30:31], s[24:25]
	v_add_f64 v[4:5], v[4:5], v[114:115]
	v_fmac_f64_e32 v[102:103], s[10:11], v[72:73]
	v_add_f64 v[8:9], v[106:107], v[8:9]
	s_mov_b32 s57, 0x3fc7851a
	s_mov_b32 s56, s44
	v_mul_f64 v[104:105], v[18:19], s[36:37]
	v_fma_f64 v[114:115], s[16:17], v[66:67], v[112:113]
	v_fmac_f64_e32 v[98:99], s[16:17], v[20:21]
	v_add_f64 v[8:9], v[102:103], v[8:9]
	v_mul_f64 v[100:101], v[24:25], s[56:57]
	v_fma_f64 v[106:107], s[28:29], v[70:71], v[104:105]
	v_add_f64 v[114:115], v[206:207], v[114:115]
	v_fmac_f64_e32 v[90:91], s[34:35], v[28:29]
	v_add_f64 v[8:9], v[98:99], v[8:9]
	v_mul_f64 v[96:97], v[86:87], s[52:53]
	v_fma_f64 v[102:103], s[38:39], v[74:75], v[100:101]
	v_add_f64 v[106:107], v[106:107], v[114:115]
	;; [unrolled: 5-line block ×3, first 2 shown]
	v_fma_f64 v[112:113], v[66:67], s[16:17], -v[112:113]
	v_fmac_f64_e32 v[14:15], s[14:15], v[52:53]
	v_add_f64 v[8:9], v[82:83], v[8:9]
	v_mul_f64 v[82:83], v[42:43], s[42:43]
	v_fma_f64 v[90:91], s[14:15], v[84:85], v[88:89]
	v_add_f64 v[98:99], v[98:99], v[102:103]
	v_fma_f64 v[104:105], v[70:71], s[28:29], -v[104:105]
	v_add_f64 v[112:113], v[206:207], v[112:113]
	v_add_f64 v[8:9], v[14:15], v[8:9]
	v_mul_f64 v[48:49], v[50:51], s[26:27]
	v_fma_f64 v[14:15], s[10:11], v[44:45], v[82:83]
	v_add_f64 v[90:91], v[90:91], v[98:99]
	v_mul_f64 v[118:119], v[16:17], s[24:25]
	v_accvgpr_write_b32 a108, v120
	v_add_f64 v[104:105], v[104:105], v[112:113]
	v_fma_f64 v[100:101], v[74:75], s[38:39], -v[100:101]
	v_fma_f64 v[12:13], s[18:19], v[54:55], v[48:49]
	v_add_f64 v[14:15], v[14:15], v[90:91]
	v_mul_f64 v[90:91], v[26:27], s[36:37]
	v_accvgpr_write_b32 a109, v121
	v_accvgpr_write_b32 a110, v122
	;; [unrolled: 1-line block ×3, first 2 shown]
	v_fma_f64 v[120:121], v[78:79], s[16:17], -v[118:119]
	v_add_f64 v[100:101], v[100:101], v[104:105]
	v_fma_f64 v[96:97], v[22:23], s[22:23], -v[96:97]
	v_add_f64 v[12:13], v[12:13], v[14:15]
	v_mul_f64 v[116:117], v[32:33], s[56:57]
	v_fma_f64 v[14:15], v[64:65], s[28:29], -v[90:91]
	v_add_f64 v[120:121], v[204:205], v[120:121]
	v_add_f64 v[96:97], v[96:97], v[100:101]
	v_fma_f64 v[88:89], v[84:85], s[14:15], -v[88:89]
	v_mul_f64 v[114:115], v[46:47], s[52:53]
	v_add_f64 v[14:15], v[14:15], v[120:121]
	v_fma_f64 v[120:121], v[68:69], s[38:39], -v[116:117]
	v_add_f64 v[88:89], v[88:89], v[96:97]
	v_fma_f64 v[82:83], v[44:45], s[10:11], -v[82:83]
	v_mul_f64 v[106:107], v[36:37], s[50:51]
	v_add_f64 v[14:15], v[120:121], v[14:15]
	v_fma_f64 v[120:121], v[72:73], s[22:23], -v[114:115]
	v_add_f64 v[82:83], v[82:83], v[88:89]
	v_fma_f64 v[48:49], v[54:55], s[18:19], -v[48:49]
	v_fmac_f64_e32 v[118:119], s[16:17], v[78:79]
	v_mul_f64 v[102:103], v[58:59], s[42:43]
	v_add_f64 v[14:15], v[120:121], v[14:15]
	v_fma_f64 v[120:121], v[20:21], s[14:15], -v[106:107]
	v_mul_f64 v[122:123], v[56:57], s[40:41]
	v_add_f64 v[48:49], v[48:49], v[82:83]
	v_fmac_f64_e32 v[90:91], s[28:29], v[64:65]
	v_add_f64 v[82:83], v[204:205], v[118:119]
	v_mul_f64 v[98:99], v[62:63], s[26:27]
	v_add_f64 v[14:15], v[120:121], v[14:15]
	v_fma_f64 v[120:121], v[28:29], s[10:11], -v[102:103]
	v_add_f64 v[82:83], v[90:91], v[82:83]
	v_fma_f64 v[88:89], v[60:61], s[34:35], -v[122:123]
	v_fmac_f64_e32 v[116:117], s[38:39], v[68:69]
	v_accvgpr_write_b32 a215, v127
	v_add_f64 v[14:15], v[120:121], v[14:15]
	v_fma_f64 v[120:121], v[40:41], s[18:19], -v[98:99]
	v_add_f64 v[90:91], v[88:89], v[48:49]
	v_fmac_f64_e32 v[114:115], s[22:23], v[72:73]
	v_add_f64 v[48:49], v[116:117], v[82:83]
	v_accvgpr_write_b32 a214, v126
	v_accvgpr_write_b32 a213, v125
	;; [unrolled: 1-line block ×3, first 2 shown]
	v_add_f64 v[120:121], v[120:121], v[14:15]
	v_fma_f64 v[14:15], s[34:35], v[60:61], v[122:123]
	v_mul_f64 v[124:125], v[38:39], s[40:41]
	v_fmac_f64_e32 v[106:107], s[14:15], v[20:21]
	v_add_f64 v[48:49], v[114:115], v[48:49]
	v_add_f64 v[14:15], v[14:15], v[12:13]
	v_fma_f64 v[12:13], v[52:53], s[34:35], -v[124:125]
	v_mul_f64 v[100:101], v[30:31], s[42:43]
	v_fmac_f64_e32 v[102:103], s[10:11], v[28:29]
	v_add_f64 v[48:49], v[106:107], v[48:49]
	v_mul_f64 v[30:31], v[30:31], s[20:21]
	v_add_f64 v[12:13], v[12:13], v[120:121]
	v_fmac_f64_e32 v[98:99], s[18:19], v[40:41]
	v_add_f64 v[48:49], v[102:103], v[48:49]
	v_mul_f64 v[118:119], v[18:19], s[26:27]
	v_fma_f64 v[120:121], s[14:15], v[66:67], v[30:31]
	v_add_f64 v[48:49], v[98:99], v[48:49]
	v_mul_f64 v[116:117], v[24:25], s[36:37]
	v_fma_f64 v[98:99], s[18:19], v[70:71], v[118:119]
	v_add_f64 v[120:121], v[206:207], v[120:121]
	v_mul_f64 v[114:115], v[86:87], s[44:45]
	v_add_f64 v[98:99], v[98:99], v[120:121]
	v_fma_f64 v[120:121], s[28:29], v[74:75], v[116:117]
	v_mul_f64 v[112:113], v[34:35], s[54:55]
	v_add_f64 v[98:99], v[120:121], v[98:99]
	v_fma_f64 v[120:121], s[38:39], v[22:23], v[114:115]
	;; [unrolled: 3-line block ×3, first 2 shown]
	v_fmac_f64_e32 v[124:125], s[34:35], v[52:53]
	v_mul_f64 v[102:103], v[50:51], s[46:47]
	v_add_f64 v[98:99], v[120:121], v[98:99]
	v_fma_f64 v[120:121], s[22:23], v[44:45], v[106:107]
	v_add_f64 v[88:89], v[124:125], v[48:49]
	v_mul_f64 v[48:49], v[56:57], s[48:49]
	v_fma_f64 v[96:97], s[16:17], v[54:55], v[102:103]
	v_add_f64 v[98:99], v[120:121], v[98:99]
	v_fma_f64 v[82:83], s[10:11], v[60:61], v[48:49]
	v_add_f64 v[96:97], v[96:97], v[98:99]
	v_mul_f64 v[16:17], v[16:17], s[20:21]
	v_add_f64 v[98:99], v[82:83], v[96:97]
	v_mul_f64 v[26:27], v[26:27], s[26:27]
	v_fma_f64 v[96:97], v[78:79], s[14:15], -v[16:17]
	v_mul_f64 v[32:33], v[32:33], s[36:37]
	v_fma_f64 v[82:83], v[64:65], s[18:19], -v[26:27]
	v_add_f64 v[96:97], v[204:205], v[96:97]
	v_mul_f64 v[46:47], v[46:47], s[44:45]
	v_add_f64 v[82:83], v[82:83], v[96:97]
	v_fma_f64 v[96:97], v[68:69], s[28:29], -v[32:33]
	v_mul_f64 v[36:37], v[36:37], s[54:55]
	v_add_f64 v[82:83], v[96:97], v[82:83]
	v_fma_f64 v[96:97], v[72:73], s[38:39], -v[46:47]
	v_fmac_f64_e32 v[16:17], s[14:15], v[78:79]
	v_mul_f64 v[58:59], v[58:59], s[52:53]
	v_add_f64 v[82:83], v[96:97], v[82:83]
	v_fma_f64 v[96:97], v[20:21], s[34:35], -v[36:37]
	v_fmac_f64_e32 v[26:27], s[18:19], v[64:65]
	v_add_f64 v[16:17], v[204:205], v[16:17]
	v_add_f64 v[82:83], v[96:97], v[82:83]
	v_fma_f64 v[96:97], v[28:29], s[22:23], -v[58:59]
	v_fma_f64 v[54:55], v[54:55], s[16:17], -v[102:103]
	v_mul_f64 v[102:103], v[28:29], s[28:29]
	v_fma_f64 v[30:31], v[66:67], s[14:15], -v[30:31]
	v_fmac_f64_e32 v[58:59], s[22:23], v[28:29]
	v_fmac_f64_e32 v[32:33], s[28:29], v[68:69]
	v_add_f64 v[16:17], v[26:27], v[16:17]
	v_accvgpr_read_b32 v28, a196
	v_mul_f64 v[34:35], v[34:35], s[30:31]
	v_fma_f64 v[70:71], v[70:71], s[18:19], -v[118:119]
	v_add_f64 v[30:31], v[206:207], v[30:31]
	v_add_f64 v[16:17], v[32:33], v[16:17]
	v_accvgpr_read_b32 v29, a197
	v_accvgpr_read_b32 v32, a206
	v_mul_f64 v[24:25], v[24:25], s[24:25]
	v_fma_f64 v[74:75], v[74:75], s[28:29], -v[116:117]
	v_add_f64 v[30:31], v[70:71], v[30:31]
	v_add_f64 v[28:29], v[28:29], -v[34:35]
	v_accvgpr_read_b32 v33, a207
	v_accvgpr_read_b32 v34, a186
	v_fma_f64 v[22:23], v[22:23], s[38:39], -v[114:115]
	v_add_f64 v[30:31], v[74:75], v[30:31]
	v_fmac_f64_e32 v[46:47], s[38:39], v[72:73]
	v_add_f64 v[24:25], v[32:33], -v[24:25]
	v_accvgpr_read_b32 v32, a188
	v_accvgpr_read_b32 v35, a187
	v_mul_f64 v[62:63], v[62:63], s[46:47]
	v_mul_f64 v[120:121], v[18:19], s[20:21]
	v_fma_f64 v[84:85], v[84:85], s[34:35], -v[112:113]
	v_add_f64 v[22:23], v[22:23], v[30:31]
	v_fmac_f64_e32 v[36:37], s[34:35], v[20:21]
	v_add_f64 v[16:17], v[46:47], v[16:17]
	v_accvgpr_read_b32 v33, a189
	v_add_f64 v[34:35], v[34:35], -v[100:101]
	v_mul_f64 v[38:39], v[38:39], s[48:49]
	v_add_f64 v[82:83], v[96:97], v[82:83]
	v_fma_f64 v[96:97], v[40:41], s[16:17], -v[62:63]
	v_fma_f64 v[44:45], v[44:45], s[22:23], -v[106:107]
	v_add_f64 v[22:23], v[84:85], v[22:23]
	v_add_f64 v[16:17], v[36:37], v[16:17]
	v_accvgpr_read_b32 v30, a194
	v_add_f64 v[32:33], v[32:33], -v[120:121]
	v_add_f64 v[34:35], v[206:207], v[34:35]
	v_accvgpr_read_b32 v36, a176
	v_mul_f64 v[104:105], v[78:79], s[10:11]
	v_add_f64 v[82:83], v[96:97], v[82:83]
	v_fma_f64 v[96:97], v[52:53], s[10:11], -v[38:39]
	v_fma_f64 v[18:19], v[60:61], s[10:11], -v[48:49]
	v_mul_f64 v[60:61], v[86:87], s[26:27]
	v_add_f64 v[22:23], v[44:45], v[22:23]
	v_accvgpr_read_b32 v31, a195
	v_add_f64 v[32:33], v[32:33], v[34:35]
	v_accvgpr_read_b32 v34, a178
	v_accvgpr_read_b32 v37, a177
	v_add_f64 v[96:97], v[96:97], v[82:83]
	v_mul_f64 v[82:83], v[64:65], s[14:15]
	v_add_f64 v[22:23], v[54:55], v[22:23]
	v_accvgpr_read_b32 v26, a198
	v_add_f64 v[30:31], v[30:31], -v[60:61]
	v_add_f64 v[24:25], v[24:25], v[32:33]
	v_accvgpr_read_b32 v32, a180
	v_accvgpr_read_b32 v35, a179
	v_add_f64 v[36:37], v[104:105], v[36:37]
	v_mul_f64 v[122:123], v[68:69], s[16:17]
	v_mul_f64 v[42:43], v[42:43], s[36:37]
	v_add_f64 v[18:19], v[18:19], v[22:23]
	v_accvgpr_read_b32 v22, a202
	v_accvgpr_read_b32 v27, a199
	v_add_f64 v[24:25], v[30:31], v[24:25]
	v_accvgpr_read_b32 v30, a200
	v_accvgpr_read_b32 v33, a181
	v_add_f64 v[34:35], v[82:83], v[34:35]
	v_add_f64 v[36:37], v[204:205], v[36:37]
	v_mul_f64 v[48:49], v[72:73], s[18:19]
	v_mul_f64 v[86:87], v[20:21], s[22:23]
	;; [unrolled: 1-line block ×3, first 2 shown]
	v_accvgpr_read_b32 v20, a174
	v_accvgpr_read_b32 v23, a203
	v_add_f64 v[26:27], v[26:27], -v[42:43]
	v_add_f64 v[24:25], v[28:29], v[24:25]
	v_accvgpr_read_b32 v28, a182
	v_accvgpr_read_b32 v31, a201
	v_add_f64 v[32:33], v[122:123], v[32:33]
	v_add_f64 v[34:35], v[34:35], v[36:37]
	v_mul_f64 v[56:57], v[56:57], s[44:45]
	v_accvgpr_read_b32 v21, a175
	v_add_f64 v[22:23], v[22:23], -v[50:51]
	v_add_f64 v[24:25], v[26:27], v[24:25]
	v_accvgpr_read_b32 v26, a184
	v_accvgpr_read_b32 v29, a183
	v_add_f64 v[30:31], v[48:49], v[30:31]
	v_add_f64 v[32:33], v[32:33], v[34:35]
	v_add_f64 v[20:21], v[20:21], -v[56:57]
	v_add_f64 v[22:23], v[22:23], v[24:25]
	v_accvgpr_read_b32 v24, a204
	v_accvgpr_read_b32 v27, a185
	v_add_f64 v[28:29], v[86:87], v[28:29]
	v_add_f64 v[30:31], v[30:31], v[32:33]
	v_mul_f64 v[106:107], v[40:41], s[34:35]
	v_add_f64 v[22:23], v[20:21], v[22:23]
	v_accvgpr_read_b32 v20, a168
	v_accvgpr_read_b32 v25, a205
	v_add_f64 v[26:27], v[102:103], v[26:27]
	v_add_f64 v[28:29], v[28:29], v[30:31]
	v_mul_f64 v[112:113], v[52:53], s[38:39]
	v_accvgpr_read_b32 v21, a169
	v_add_f64 v[24:25], v[106:107], v[24:25]
	v_add_f64 v[26:27], v[26:27], v[28:29]
	v_add_f64 v[20:21], v[112:113], v[20:21]
	v_add_f64 v[24:25], v[24:25], v[26:27]
	v_add_f64 v[20:21], v[20:21], v[24:25]
	v_add_f64 v[24:25], v[206:207], v[214:215]
	v_add_f64 v[24:25], v[210:211], v[24:25]
	v_add_f64 v[24:25], v[218:219], v[24:25]
	v_add_f64 v[24:25], v[222:223], v[24:25]
	v_add_f64 v[24:25], v[230:231], v[24:25]
	v_add_f64 v[24:25], v[226:227], v[24:25]
	v_add_f64 v[24:25], v[234:235], v[24:25]
	v_add_f64 v[24:25], v[238:239], v[24:25]
	v_add_f64 v[24:25], v[246:247], v[24:25]
	v_add_f64 v[24:25], v[242:243], v[24:25]
	v_add_f64 v[24:25], v[250:251], v[24:25]
	v_add_f64 v[24:25], v[254:255], v[24:25]
	v_add_f64 v[24:25], v[142:143], v[24:25]
	v_add_f64 v[24:25], v[138:139], v[24:25]
	v_add_f64 v[24:25], v[146:147], v[24:25]
	v_add_f64 v[26:27], v[202:203], v[24:25]
	v_add_f64 v[24:25], v[204:205], v[212:213]
	v_add_f64 v[24:25], v[208:209], v[24:25]
	v_add_f64 v[24:25], v[216:217], v[24:25]
	v_add_f64 v[24:25], v[220:221], v[24:25]
	v_add_f64 v[24:25], v[228:229], v[24:25]
	v_add_f64 v[24:25], v[224:225], v[24:25]
	v_add_f64 v[24:25], v[232:233], v[24:25]
	v_add_f64 v[24:25], v[236:237], v[24:25]
	v_add_f64 v[24:25], v[244:245], v[24:25]
	v_add_f64 v[24:25], v[240:241], v[24:25]
	v_add_f64 v[24:25], v[248:249], v[24:25]
	v_add_f64 v[24:25], v[252:253], v[24:25]
	v_add_f64 v[24:25], v[140:141], v[24:25]
	v_add_f64 v[24:25], v[136:137], v[24:25]
	v_accvgpr_read_b32 v28, a166
	v_fmac_f64_e32 v[62:63], s[16:17], v[40:41]
	v_add_f64 v[16:17], v[58:59], v[16:17]
	v_add_f64 v[24:25], v[144:145], v[24:25]
	v_mul_lo_u16_e32 v28, 17, v28
	v_fmac_f64_e32 v[38:39], s[10:11], v[52:53]
	v_add_f64 v[16:17], v[62:63], v[16:17]
	v_add_f64 v[24:25], v[200:201], v[24:25]
	v_lshlrev_b32_e32 v28, 4, v28
	v_accvgpr_read_b32 v119, a103
	v_add_f64 v[16:17], v[38:39], v[16:17]
	v_accvgpr_read_b32 v115, a83
	v_accvgpr_read_b32 v103, a75
	;; [unrolled: 1-line block ×4, first 2 shown]
	ds_write_b128 v28, v[24:27]
	ds_write_b128 v28, v[20:23] offset:16
	ds_write_b128 v28, v[16:19] offset:32
	;; [unrolled: 1-line block ×12, first 2 shown]
	v_accvgpr_read_b32 v108, a144
	v_accvgpr_read_b32 v118, a102
	;; [unrolled: 1-line block ×19, first 2 shown]
	ds_write_b128 v28, v[4:7] offset:208
	ds_write_b128 v28, v[12:15] offset:224
	;; [unrolled: 1-line block ×3, first 2 shown]
	v_accvgpr_read_b32 v99, a160
	v_accvgpr_read_b32 v98, a91
	;; [unrolled: 1-line block ×3, first 2 shown]
	ds_write_b128 v28, v[160:163] offset:256
.LBB0_17:
	s_or_b64 exec, exec, s[2:3]
	v_accvgpr_read_b32 v69, a9
	v_accvgpr_read_b32 v68, a8
	s_waitcnt lgkmcnt(0)
	s_barrier
	ds_read_b128 v[0:3], v80
	ds_read_b128 v[4:7], v80 offset:1904
	ds_read_b128 v[8:11], v80 offset:15232
	ds_read_b128 v[12:15], v80 offset:17136
	ds_read_b128 v[16:19], v80 offset:3808
	ds_read_b128 v[20:23], v80 offset:5712
	ds_read_b128 v[24:27], v80 offset:19040
	ds_read_b128 v[28:31], v80 offset:20944
	ds_read_b128 v[32:35], v80 offset:7616
	ds_read_b128 v[36:39], v80 offset:9520
	ds_read_b128 v[40:43], v80 offset:22848
	ds_read_b128 v[44:47], v80 offset:24752
	ds_read_b128 v[48:51], v80 offset:11424
	ds_read_b128 v[52:55], v80 offset:13328
	ds_read_b128 v[56:59], v80 offset:26656
	ds_read_b128 v[60:63], v80 offset:28560
	v_accvgpr_read_b32 v67, a7
	v_accvgpr_read_b32 v66, a6
	s_waitcnt lgkmcnt(13)
	v_mul_f64 v[64:65], v[68:69], v[10:11]
	v_fmac_f64_e32 v[64:65], v[66:67], v[8:9]
	v_mul_f64 v[8:9], v[68:69], v[8:9]
	v_accvgpr_read_b32 v71, a5
	v_accvgpr_read_b32 v70, a4
	v_fma_f64 v[10:11], v[66:67], v[10:11], -v[8:9]
	s_waitcnt lgkmcnt(12)
	v_mul_f64 v[66:67], v[70:71], v[14:15]
	v_mul_f64 v[8:9], v[70:71], v[12:13]
	v_accvgpr_read_b32 v73, a17
	v_accvgpr_read_b32 v69, a3
	;; [unrolled: 1-line block ×4, first 2 shown]
	v_fmac_f64_e32 v[66:67], v[68:69], v[12:13]
	v_fma_f64 v[14:15], v[68:69], v[14:15], -v[8:9]
	s_waitcnt lgkmcnt(9)
	v_mul_f64 v[68:69], v[72:73], v[26:27]
	v_mul_f64 v[8:9], v[72:73], v[24:25]
	v_accvgpr_read_b32 v75, a13
	v_accvgpr_read_b32 v71, a15
	v_accvgpr_read_b32 v70, a14
	v_accvgpr_read_b32 v74, a12
	v_accvgpr_read_b32 v85, a25
	v_fmac_f64_e32 v[68:69], v[70:71], v[24:25]
	v_fma_f64 v[26:27], v[70:71], v[26:27], -v[8:9]
	v_accvgpr_read_b32 v73, a11
	v_accvgpr_read_b32 v72, a10
	s_waitcnt lgkmcnt(8)
	v_mul_f64 v[70:71], v[74:75], v[30:31]
	v_mul_f64 v[8:9], v[74:75], v[28:29]
	v_accvgpr_read_b32 v84, a24
	v_fmac_f64_e32 v[70:71], v[72:73], v[28:29]
	v_fma_f64 v[30:31], v[72:73], v[30:31], -v[8:9]
	v_accvgpr_read_b32 v83, a23
	v_accvgpr_read_b32 v82, a22
	s_waitcnt lgkmcnt(5)
	v_mul_f64 v[72:73], v[84:85], v[42:43]
	v_mul_f64 v[8:9], v[84:85], v[40:41]
	v_fmac_f64_e32 v[72:73], v[82:83], v[40:41]
	v_fma_f64 v[42:43], v[82:83], v[42:43], -v[8:9]
	v_accvgpr_read_b32 v85, a21
	v_accvgpr_read_b32 v84, a20
	;; [unrolled: 1-line block ×4, first 2 shown]
	s_waitcnt lgkmcnt(4)
	v_mul_f64 v[74:75], v[84:85], v[46:47]
	v_mul_f64 v[8:9], v[84:85], v[44:45]
	v_fmac_f64_e32 v[74:75], v[82:83], v[44:45]
	v_fma_f64 v[46:47], v[82:83], v[46:47], -v[8:9]
	v_accvgpr_read_b32 v85, a33
	v_accvgpr_read_b32 v84, a32
	s_waitcnt lgkmcnt(1)
	v_mul_f64 v[78:79], v[84:85], v[58:59]
	v_mul_f64 v[8:9], v[84:85], v[56:57]
	v_accvgpr_read_b32 v87, a29
	v_accvgpr_read_b32 v83, a31
	;; [unrolled: 1-line block ×4, first 2 shown]
	v_fma_f64 v[58:59], v[82:83], v[58:59], -v[8:9]
	v_accvgpr_read_b32 v85, a27
	v_accvgpr_read_b32 v84, a26
	s_waitcnt lgkmcnt(0)
	v_mul_f64 v[8:9], v[86:87], v[60:61]
	v_fmac_f64_e32 v[78:79], v[82:83], v[56:57]
	v_mul_f64 v[82:83], v[86:87], v[62:63]
	v_fma_f64 v[62:63], v[84:85], v[62:63], -v[8:9]
	v_add_f64 v[8:9], v[0:1], -v[64:65]
	v_add_f64 v[10:11], v[2:3], -v[10:11]
	v_fma_f64 v[0:1], v[0:1], 2.0, -v[8:9]
	v_fma_f64 v[2:3], v[2:3], 2.0, -v[10:11]
	v_add_f64 v[12:13], v[4:5], -v[66:67]
	v_add_f64 v[14:15], v[6:7], -v[14:15]
	v_accvgpr_read_b32 v64, a1
	v_fma_f64 v[4:5], v[4:5], 2.0, -v[12:13]
	v_fma_f64 v[6:7], v[6:7], 2.0, -v[14:15]
	v_add_f64 v[24:25], v[16:17], -v[68:69]
	v_add_f64 v[26:27], v[18:19], -v[26:27]
	s_barrier
	ds_write_b128 v64, v[0:3]
	ds_write_b128 v64, v[8:11] offset:272
	v_accvgpr_read_b32 v0, a34
	v_fma_f64 v[16:17], v[16:17], 2.0, -v[24:25]
	v_fma_f64 v[18:19], v[18:19], 2.0, -v[26:27]
	v_add_f64 v[28:29], v[20:21], -v[70:71]
	v_add_f64 v[30:31], v[22:23], -v[30:31]
	ds_write_b128 v0, v[4:7]
	ds_write_b128 v0, v[12:15] offset:272
	v_accvgpr_read_b32 v0, a35
	v_fma_f64 v[20:21], v[20:21], 2.0, -v[28:29]
	v_fma_f64 v[22:23], v[22:23], 2.0, -v[30:31]
	v_add_f64 v[40:41], v[32:33], -v[72:73]
	v_add_f64 v[42:43], v[34:35], -v[42:43]
	ds_write_b128 v0, v[16:19]
	ds_write_b128 v0, v[24:27] offset:272
	v_accvgpr_read_b32 v0, a36
	v_fma_f64 v[32:33], v[32:33], 2.0, -v[40:41]
	v_fma_f64 v[34:35], v[34:35], 2.0, -v[42:43]
	v_add_f64 v[44:45], v[36:37], -v[74:75]
	v_add_f64 v[46:47], v[38:39], -v[46:47]
	ds_write_b128 v0, v[20:23]
	ds_write_b128 v0, v[28:31] offset:272
	v_accvgpr_read_b32 v0, a161
	v_fmac_f64_e32 v[82:83], v[84:85], v[60:61]
	v_fma_f64 v[36:37], v[36:37], 2.0, -v[44:45]
	v_fma_f64 v[38:39], v[38:39], 2.0, -v[46:47]
	v_add_f64 v[56:57], v[48:49], -v[78:79]
	v_add_f64 v[58:59], v[50:51], -v[58:59]
	ds_write_b128 v0, v[32:35]
	ds_write_b128 v0, v[40:43] offset:272
	v_accvgpr_read_b32 v0, a167
	v_fma_f64 v[48:49], v[48:49], 2.0, -v[56:57]
	v_fma_f64 v[50:51], v[50:51], 2.0, -v[58:59]
	v_add_f64 v[60:61], v[52:53], -v[82:83]
	v_add_f64 v[62:63], v[54:55], -v[62:63]
	ds_write_b128 v0, v[36:39]
	ds_write_b128 v0, v[44:47] offset:272
	v_accvgpr_read_b32 v0, a37
	v_accvgpr_read_b32 v69, a47
	v_fma_f64 v[52:53], v[52:53], 2.0, -v[60:61]
	v_fma_f64 v[54:55], v[54:55], 2.0, -v[62:63]
	ds_write_b128 v0, v[48:51]
	ds_write_b128 v0, v[56:59] offset:272
	v_accvgpr_read_b32 v0, a38
	v_accvgpr_read_b32 v68, a46
	ds_write_b128 v0, v[52:55]
	ds_write_b128 v0, v[60:63] offset:272
	s_waitcnt lgkmcnt(0)
	s_barrier
	ds_read_b128 v[0:3], v80
	ds_read_b128 v[4:7], v80 offset:1904
	ds_read_b128 v[8:11], v80 offset:15232
	;; [unrolled: 1-line block ×15, first 2 shown]
	v_accvgpr_read_b32 v67, a45
	v_accvgpr_read_b32 v66, a44
	s_waitcnt lgkmcnt(13)
	v_mul_f64 v[64:65], v[68:69], v[10:11]
	v_fmac_f64_e32 v[64:65], v[66:67], v[8:9]
	v_mul_f64 v[8:9], v[68:69], v[8:9]
	v_accvgpr_read_b32 v71, a43
	v_accvgpr_read_b32 v70, a42
	v_fma_f64 v[10:11], v[66:67], v[10:11], -v[8:9]
	v_accvgpr_read_b32 v69, a41
	v_accvgpr_read_b32 v68, a40
	s_waitcnt lgkmcnt(12)
	v_mul_f64 v[66:67], v[70:71], v[14:15]
	v_mul_f64 v[8:9], v[70:71], v[12:13]
	v_fmac_f64_e32 v[66:67], v[68:69], v[12:13]
	v_fma_f64 v[68:69], v[68:69], v[14:15], -v[8:9]
	v_accvgpr_read_b32 v12, a52
	v_accvgpr_read_b32 v14, a54
	v_accvgpr_read_b32 v15, a55
	v_accvgpr_read_b32 v13, a53
	s_waitcnt lgkmcnt(9)
	v_mul_f64 v[70:71], v[14:15], v[26:27]
	v_mul_f64 v[8:9], v[14:15], v[24:25]
	v_fmac_f64_e32 v[70:71], v[12:13], v[24:25]
	v_fma_f64 v[72:73], v[12:13], v[26:27], -v[8:9]
	v_accvgpr_read_b32 v12, a48
	v_accvgpr_read_b32 v14, a50
	;; [unrolled: 9-line block ×6, first 2 shown]
	v_accvgpr_read_b32 v15, a67
	v_accvgpr_read_b32 v13, a65
	s_waitcnt lgkmcnt(0)
	v_mul_f64 v[94:95], v[14:15], v[62:63]
	v_fmac_f64_e32 v[94:95], v[12:13], v[60:61]
	v_mul_f64 v[8:9], v[14:15], v[60:61]
	v_add_f64 v[24:25], v[4:5], -v[66:67]
	v_fma_f64 v[96:97], v[12:13], v[62:63], -v[8:9]
	v_add_f64 v[8:9], v[0:1], -v[64:65]
	v_add_f64 v[10:11], v[2:3], -v[10:11]
	v_fma_f64 v[28:29], v[4:5], 2.0, -v[24:25]
	v_add_f64 v[4:5], v[52:53], -v[94:95]
	v_fma_f64 v[12:13], v[0:1], 2.0, -v[8:9]
	v_fma_f64 v[14:15], v[2:3], 2.0, -v[10:11]
	v_add_f64 v[26:27], v[6:7], -v[68:69]
	v_fma_f64 v[0:1], v[52:53], 2.0, -v[4:5]
	v_accvgpr_read_b32 v52, a39
	v_fma_f64 v[30:31], v[6:7], 2.0, -v[26:27]
	v_add_f64 v[40:41], v[16:17], -v[70:71]
	v_add_f64 v[42:43], v[18:19], -v[72:73]
	s_barrier
	ds_write_b128 v52, v[12:15]
	ds_write_b128 v52, v[8:11] offset:544
	v_accvgpr_read_b32 v8, a84
	v_fma_f64 v[16:17], v[16:17], 2.0, -v[40:41]
	v_fma_f64 v[18:19], v[18:19], 2.0, -v[42:43]
	v_add_f64 v[44:45], v[20:21], -v[74:75]
	v_add_f64 v[46:47], v[22:23], -v[78:79]
	ds_write_b128 v8, v[28:31]
	ds_write_b128 v8, v[24:27] offset:544
	v_accvgpr_read_b32 v8, a85
	v_fma_f64 v[20:21], v[20:21], 2.0, -v[44:45]
	v_fma_f64 v[22:23], v[22:23], 2.0, -v[46:47]
	v_add_f64 v[56:57], v[32:33], -v[82:83]
	v_add_f64 v[58:59], v[34:35], -v[84:85]
	;; [unrolled: 7-line block ×4, first 2 shown]
	ds_write_b128 v8, v[32:35]
	ds_write_b128 v8, v[56:59] offset:544
	v_accvgpr_read_b32 v8, a88
	v_fma_f64 v[48:49], v[48:49], 2.0, -v[64:65]
	v_fma_f64 v[50:51], v[50:51], 2.0, -v[66:67]
	v_add_f64 v[6:7], v[54:55], -v[96:97]
	ds_write_b128 v8, v[36:39]
	ds_write_b128 v8, v[60:63] offset:544
	v_accvgpr_read_b32 v8, a89
	v_fma_f64 v[2:3], v[54:55], 2.0, -v[6:7]
	ds_write_b128 v8, v[48:51]
	ds_write_b128 v8, v[64:67] offset:544
	v_accvgpr_read_b32 v8, a90
	ds_write_b128 v8, v[0:3]
	ds_write_b128 v8, v[4:7] offset:544
	s_waitcnt lgkmcnt(0)
	s_barrier
	ds_read_b128 v[12:15], v80
	ds_read_b128 v[8:11], v80 offset:1904
	ds_read_b128 v[60:63], v80 offset:4352
	;; [unrolled: 1-line block ×13, first 2 shown]
	s_and_saveexec_b64 s[2:3], s[0:1]
	s_cbranch_execz .LBB0_19
; %bb.18:
	ds_read_b128 v[0:3], v80 offset:3808
	ds_read_b128 v[4:7], v80 offset:8160
	;; [unrolled: 1-line block ×7, first 2 shown]
.LBB0_19:
	s_or_b64 exec, exec, s[2:3]
	v_accvgpr_read_b32 v66, a112
	v_accvgpr_read_b32 v68, a114
	v_accvgpr_read_b32 v69, a115
	v_accvgpr_read_b32 v67, a113
	s_waitcnt lgkmcnt(11)
	v_mul_f64 v[64:65], v[68:69], v[62:63]
	v_fmac_f64_e32 v[64:65], v[66:67], v[60:61]
	v_mul_f64 v[60:61], v[68:69], v[60:61]
	v_fma_f64 v[60:61], v[66:67], v[62:63], -v[60:61]
	v_accvgpr_read_b32 v66, a104
	v_accvgpr_read_b32 v68, a106
	v_accvgpr_read_b32 v69, a107
	v_accvgpr_read_b32 v67, a105
	s_waitcnt lgkmcnt(9)
	v_mul_f64 v[62:63], v[68:69], v[58:59]
	v_fmac_f64_e32 v[62:63], v[66:67], v[56:57]
	v_mul_f64 v[56:57], v[68:69], v[56:57]
	v_fma_f64 v[56:57], v[66:67], v[58:59], -v[56:57]
	;; [unrolled: 9-line block ×6, first 2 shown]
	v_mul_f64 v[42:43], v[134:135], v[38:39]
	v_fmac_f64_e32 v[42:43], v[132:133], v[36:37]
	v_mul_f64 v[36:37], v[134:135], v[36:37]
	v_fma_f64 v[66:67], v[132:133], v[38:39], -v[36:37]
	v_accvgpr_read_b32 v36, a140
	v_accvgpr_read_b32 v38, a142
	;; [unrolled: 1-line block ×4, first 2 shown]
	v_mul_f64 v[68:69], v[38:39], v[34:35]
	v_fmac_f64_e32 v[68:69], v[36:37], v[32:33]
	v_mul_f64 v[32:33], v[38:39], v[32:33]
	v_fma_f64 v[70:71], v[36:37], v[34:35], -v[32:33]
	v_accvgpr_read_b32 v32, a132
	v_accvgpr_read_b32 v34, a134
	;; [unrolled: 1-line block ×4, first 2 shown]
	v_mul_f64 v[72:73], v[34:35], v[30:31]
	v_mul_f64 v[84:85], v[130:131], v[22:23]
	v_fmac_f64_e32 v[72:73], v[32:33], v[28:29]
	v_mul_f64 v[28:29], v[34:35], v[28:29]
	v_fmac_f64_e32 v[84:85], v[128:129], v[20:21]
	v_mul_f64 v[20:21], v[130:131], v[20:21]
	v_fma_f64 v[74:75], v[32:33], v[30:31], -v[28:29]
	v_accvgpr_read_b32 v28, a128
	v_fma_f64 v[86:87], v[128:129], v[22:23], -v[20:21]
	v_accvgpr_read_b32 v20, a136
	v_accvgpr_read_b32 v30, a130
	;; [unrolled: 1-line block ×6, first 2 shown]
	v_mul_f64 v[78:79], v[30:31], v[26:27]
	v_accvgpr_read_b32 v21, a137
	s_waitcnt lgkmcnt(0)
	v_mul_f64 v[88:89], v[22:23], v[18:19]
	v_fmac_f64_e32 v[78:79], v[28:29], v[24:25]
	v_mul_f64 v[24:25], v[30:31], v[24:25]
	v_fmac_f64_e32 v[88:89], v[20:21], v[16:17]
	v_mul_f64 v[16:17], v[22:23], v[16:17]
	v_fma_f64 v[82:83], v[28:29], v[26:27], -v[24:25]
	v_fma_f64 v[90:91], v[20:21], v[18:19], -v[16:17]
	v_add_f64 v[16:17], v[64:65], v[46:47]
	v_add_f64 v[24:25], v[62:63], v[50:51]
	;; [unrolled: 1-line block ×3, first 2 shown]
	v_add_f64 v[22:23], v[60:61], -v[40:41]
	v_add_f64 v[26:27], v[56:57], v[44:45]
	v_add_f64 v[32:33], v[58:59], v[54:55]
	;; [unrolled: 1-line block ×3, first 2 shown]
	v_add_f64 v[20:21], v[64:65], -v[46:47]
	v_add_f64 v[30:31], v[56:57], -v[44:45]
	v_add_f64 v[34:35], v[52:53], v[48:49]
	v_add_f64 v[44:45], v[26:27], v[18:19]
	v_add_f64 v[46:47], v[24:25], -v[16:17]
	v_add_f64 v[16:17], v[16:17], -v[32:33]
	;; [unrolled: 1-line block ×3, first 2 shown]
	v_add_f64 v[32:33], v[32:33], v[40:41]
	v_add_f64 v[28:29], v[62:63], -v[50:51]
	v_add_f64 v[36:37], v[54:55], -v[58:59]
	v_add_f64 v[38:39], v[48:49], -v[52:53]
	v_add_f64 v[48:49], v[26:27], -v[18:19]
	v_add_f64 v[18:19], v[18:19], -v[34:35]
	v_add_f64 v[26:27], v[34:35], -v[26:27]
	v_add_f64 v[34:35], v[34:35], v[44:45]
	v_add_f64 v[12:13], v[12:13], v[32:33]
	s_mov_b32 s14, 0x37e14327
	s_mov_b32 s16, 0x36b3c0b5
	;; [unrolled: 1-line block ×5, first 2 shown]
	v_add_f64 v[50:51], v[36:37], v[28:29]
	v_add_f64 v[52:53], v[38:39], v[30:31]
	v_add_f64 v[54:55], v[36:37], -v[28:29]
	v_add_f64 v[56:57], v[38:39], -v[30:31]
	;; [unrolled: 1-line block ×4, first 2 shown]
	v_add_f64 v[14:15], v[14:15], v[34:35]
	s_mov_b32 s15, 0x3fe948f6
	s_mov_b32 s17, 0x3fac98ee
	;; [unrolled: 1-line block ×5, first 2 shown]
	v_mov_b64_e32 v[58:59], v[12:13]
	s_mov_b32 s10, 0x5476071b
	s_mov_b32 s28, 0xb247c609
	v_add_f64 v[36:37], v[20:21], -v[36:37]
	v_add_f64 v[38:39], v[22:23], -v[38:39]
	v_add_f64 v[20:21], v[50:51], v[20:21]
	v_add_f64 v[22:23], v[52:53], v[22:23]
	v_mul_f64 v[16:17], v[16:17], s[14:15]
	v_mul_f64 v[18:19], v[18:19], s[14:15]
	;; [unrolled: 1-line block ×8, first 2 shown]
	v_fmac_f64_e32 v[58:59], s[26:27], v[32:33]
	v_mov_b64_e32 v[32:33], v[14:15]
	s_mov_b32 s11, 0x3fe77f67
	s_mov_b32 s21, 0xbfe77f67
	;; [unrolled: 1-line block ×7, first 2 shown]
	v_fmac_f64_e32 v[32:33], s[26:27], v[34:35]
	v_fma_f64 v[34:35], v[46:47], s[10:11], -v[40:41]
	v_fma_f64 v[40:41], v[48:49], s[10:11], -v[44:45]
	;; [unrolled: 1-line block ×3, first 2 shown]
	v_fmac_f64_e32 v[16:17], s[16:17], v[24:25]
	v_fma_f64 v[24:25], v[48:49], s[20:21], -v[18:19]
	v_fma_f64 v[46:47], v[28:29], s[2:3], -v[50:51]
	v_fmac_f64_e32 v[50:51], s[28:29], v[36:37]
	v_fma_f64 v[28:29], v[30:31], s[2:3], -v[52:53]
	v_fmac_f64_e32 v[52:53], s[28:29], v[38:39]
	v_fma_f64 v[36:37], v[36:37], s[24:25], -v[54:55]
	v_fma_f64 v[38:39], v[38:39], s[24:25], -v[56:57]
	s_mov_b32 s23, 0xbfdc38aa
	v_fmac_f64_e32 v[18:19], s[16:17], v[26:27]
	v_add_f64 v[48:49], v[16:17], v[58:59]
	v_add_f64 v[30:31], v[34:35], v[58:59]
	v_add_f64 v[34:35], v[40:41], v[32:33]
	v_add_f64 v[40:41], v[44:45], v[58:59]
	v_add_f64 v[44:45], v[24:25], v[32:33]
	v_fmac_f64_e32 v[52:53], s[22:23], v[22:23]
	v_fmac_f64_e32 v[46:47], s[22:23], v[20:21]
	;; [unrolled: 1-line block ×5, first 2 shown]
	v_add_f64 v[54:55], v[18:19], v[32:33]
	v_fmac_f64_e32 v[50:51], s[22:23], v[20:21]
	v_add_f64 v[16:17], v[52:53], v[48:49]
	v_add_f64 v[20:21], v[38:39], v[40:41]
	v_add_f64 v[22:23], v[44:45], -v[36:37]
	v_add_f64 v[24:25], v[30:31], -v[28:29]
	v_add_f64 v[26:27], v[46:47], v[34:35]
	v_add_f64 v[28:29], v[28:29], v[30:31]
	v_add_f64 v[30:31], v[34:35], -v[46:47]
	v_add_f64 v[32:33], v[40:41], -v[38:39]
	v_add_f64 v[34:35], v[36:37], v[44:45]
	v_add_f64 v[36:37], v[48:49], -v[52:53]
	v_add_f64 v[40:41], v[42:43], v[88:89]
	v_add_f64 v[48:49], v[68:69], v[84:85]
	v_add_f64 v[18:19], v[54:55], -v[50:51]
	v_add_f64 v[38:39], v[50:51], v[54:55]
	v_add_f64 v[44:45], v[66:67], v[90:91]
	;; [unrolled: 1-line block ×5, first 2 shown]
	v_add_f64 v[46:47], v[66:67], -v[90:91]
	v_add_f64 v[52:53], v[68:69], -v[84:85]
	v_add_f64 v[58:59], v[74:75], v[82:83]
	v_add_f64 v[66:67], v[50:51], v[44:45]
	v_add_f64 v[68:69], v[48:49], -v[40:41]
	v_add_f64 v[40:41], v[40:41], -v[56:57]
	;; [unrolled: 1-line block ×3, first 2 shown]
	v_add_f64 v[56:57], v[56:57], v[64:65]
	v_add_f64 v[42:43], v[42:43], -v[88:89]
	v_add_f64 v[54:55], v[70:71], -v[86:87]
	;; [unrolled: 1-line block ×7, first 2 shown]
	v_add_f64 v[58:59], v[58:59], v[66:67]
	v_add_f64 v[8:9], v[8:9], v[56:57]
	;; [unrolled: 1-line block ×4, first 2 shown]
	v_add_f64 v[78:79], v[60:61], -v[52:53]
	v_add_f64 v[82:83], v[62:63], -v[54:55]
	;; [unrolled: 1-line block ×4, first 2 shown]
	v_add_f64 v[10:11], v[10:11], v[58:59]
	v_mov_b64_e32 v[84:85], v[8:9]
	v_add_f64 v[60:61], v[42:43], -v[60:61]
	v_add_f64 v[62:63], v[46:47], -v[62:63]
	v_add_f64 v[42:43], v[72:73], v[42:43]
	v_add_f64 v[46:47], v[74:75], v[46:47]
	v_mul_f64 v[40:41], v[40:41], s[14:15]
	v_mul_f64 v[44:45], v[44:45], s[14:15]
	;; [unrolled: 1-line block ×8, first 2 shown]
	v_fmac_f64_e32 v[84:85], s[26:27], v[56:57]
	v_mov_b64_e32 v[56:57], v[10:11]
	v_fmac_f64_e32 v[56:57], s[26:27], v[58:59]
	v_fma_f64 v[58:59], v[68:69], s[10:11], -v[64:65]
	v_fma_f64 v[64:65], v[70:71], s[10:11], -v[66:67]
	;; [unrolled: 1-line block ×3, first 2 shown]
	v_fmac_f64_e32 v[40:41], s[16:17], v[48:49]
	v_fma_f64 v[48:49], v[70:71], s[20:21], -v[44:45]
	v_fmac_f64_e32 v[44:45], s[16:17], v[50:51]
	v_fma_f64 v[68:69], v[52:53], s[2:3], -v[72:73]
	;; [unrolled: 2-line block ×4, first 2 shown]
	v_fma_f64 v[62:63], v[62:63], s[24:25], -v[82:83]
	v_add_f64 v[70:71], v[40:41], v[84:85]
	v_add_f64 v[78:79], v[44:45], v[56:57]
	;; [unrolled: 1-line block ×6, first 2 shown]
	v_fmac_f64_e32 v[72:73], s[22:23], v[42:43]
	v_fmac_f64_e32 v[74:75], s[22:23], v[46:47]
	;; [unrolled: 1-line block ×6, first 2 shown]
	v_add_f64 v[40:41], v[74:75], v[70:71]
	v_add_f64 v[42:43], v[78:79], -v[72:73]
	v_add_f64 v[44:45], v[62:63], v[64:65]
	v_add_f64 v[46:47], v[66:67], -v[60:61]
	v_add_f64 v[48:49], v[54:55], -v[52:53]
	v_add_f64 v[50:51], v[68:69], v[58:59]
	v_add_f64 v[52:53], v[52:53], v[54:55]
	v_add_f64 v[54:55], v[58:59], -v[68:69]
	v_add_f64 v[56:57], v[64:65], -v[62:63]
	v_add_f64 v[58:59], v[60:61], v[66:67]
	v_add_f64 v[60:61], v[70:71], -v[74:75]
	v_add_f64 v[62:63], v[72:73], v[78:79]
	s_barrier
	ds_write_b128 v99, v[12:15]
	ds_write_b128 v99, v[16:19] offset:1088
	ds_write_b128 v99, v[20:23] offset:2176
	;; [unrolled: 1-line block ×6, first 2 shown]
	ds_write_b128 v81, v[8:11]
	ds_write_b128 v81, v[40:43] offset:1088
	ds_write_b128 v81, v[44:47] offset:2176
	;; [unrolled: 1-line block ×6, first 2 shown]
	s_mov_b64 s[30:31], exec
	s_and_b64 s[0:1], s[30:31], s[0:1]
	v_accvgpr_read_b32 v126, a166
	s_mov_b64 exec, s[0:1]
	s_cbranch_execz .LBB0_21
; %bb.20:
	v_accvgpr_read_b32 v32, a156
	v_accvgpr_read_b32 v36, a124
	;; [unrolled: 1-line block ×3, first 2 shown]
	v_mul_f64 v[8:9], v[118:119], v[6:7]
	v_accvgpr_read_b32 v34, a158
	v_accvgpr_read_b32 v35, a159
	;; [unrolled: 1-line block ×7, first 2 shown]
	v_fmac_f64_e32 v[8:9], v[116:117], v[4:5]
	v_accvgpr_read_b32 v33, a157
	v_mul_f64 v[10:11], v[122:123], v[34:35]
	v_accvgpr_read_b32 v46, a150
	v_accvgpr_read_b32 v47, a151
	v_mul_f64 v[22:23], v[114:115], v[162:163]
	v_accvgpr_read_b32 v37, a125
	v_accvgpr_read_b32 v41, a153
	v_mul_f64 v[24:25], v[38:39], v[42:43]
	v_mul_f64 v[4:5], v[118:119], v[4:5]
	v_fmac_f64_e32 v[10:11], v[120:121], v[32:33]
	v_accvgpr_read_b32 v45, a149
	v_mul_f64 v[14:15], v[102:103], v[46:47]
	v_mul_f64 v[16:17], v[106:107], v[110:111]
	v_fmac_f64_e32 v[22:23], v[112:113], v[160:161]
	v_fmac_f64_e32 v[24:25], v[36:37], v[40:41]
	v_fma_f64 v[4:5], v[116:117], v[6:7], -v[4:5]
	v_mul_f64 v[6:7], v[38:39], v[40:41]
	v_add_f64 v[12:13], v[8:9], -v[10:11]
	v_fmac_f64_e32 v[14:15], v[100:101], v[44:45]
	v_fmac_f64_e32 v[16:17], v[104:105], v[108:109]
	v_add_f64 v[26:27], v[22:23], -v[24:25]
	v_mul_f64 v[32:33], v[122:123], v[32:33]
	v_fma_f64 v[36:37], v[36:37], v[42:43], -v[6:7]
	v_mul_f64 v[6:7], v[114:115], v[160:161]
	v_add_f64 v[8:9], v[8:9], v[10:11]
	v_add_f64 v[22:23], v[22:23], v[24:25]
	v_add_f64 v[18:19], v[14:15], -v[16:17]
	v_fma_f64 v[32:33], v[120:121], v[34:35], -v[32:33]
	v_fma_f64 v[38:39], v[112:113], v[162:163], -v[6:7]
	v_mul_f64 v[42:43], v[106:107], v[108:109]
	v_mul_f64 v[44:45], v[102:103], v[44:45]
	v_add_f64 v[10:11], v[22:23], v[8:9]
	v_add_f64 v[14:15], v[16:17], v[14:15]
	;; [unrolled: 1-line block ×4, first 2 shown]
	v_fma_f64 v[42:43], v[104:105], v[110:111], -v[42:43]
	v_fma_f64 v[44:45], v[100:101], v[46:47], -v[44:45]
	v_add_f64 v[10:11], v[14:15], v[10:11]
	v_add_f64 v[6:7], v[40:41], v[34:35]
	;; [unrolled: 1-line block ×5, first 2 shown]
	v_mov_b64_e32 v[16:17], v[0:1]
	v_add_f64 v[2:3], v[2:3], v[6:7]
	v_fmac_f64_e32 v[16:17], s[26:27], v[10:11]
	v_add_f64 v[10:11], v[8:9], -v[14:15]
	v_mov_b64_e32 v[48:49], v[2:3]
	v_mul_f64 v[24:25], v[10:11], s[14:15]
	v_add_f64 v[10:11], v[14:15], -v[22:23]
	v_add_f64 v[20:21], v[12:13], -v[18:19]
	v_add_f64 v[28:29], v[18:19], -v[26:27]
	v_add_f64 v[18:19], v[18:19], v[26:27]
	v_fmac_f64_e32 v[48:49], s[26:27], v[6:7]
	v_add_f64 v[6:7], v[34:35], -v[46:47]
	v_mul_f64 v[54:55], v[10:11], s[16:17]
	v_fma_f64 v[10:11], s[16:17], v[10:11], v[24:25]
	v_add_f64 v[14:15], v[4:5], -v[32:33]
	v_add_f64 v[4:5], v[44:45], -v[42:43]
	;; [unrolled: 1-line block ×4, first 2 shown]
	v_add_f64 v[18:19], v[18:19], v[12:13]
	v_mul_f64 v[50:51], v[6:7], s[14:15]
	v_add_f64 v[6:7], v[46:47], -v[40:41]
	v_add_f64 v[56:57], v[10:11], v[16:17]
	v_add_f64 v[32:33], v[14:15], -v[4:5]
	v_add_f64 v[10:11], v[4:5], -v[36:37]
	v_add_f64 v[4:5], v[4:5], v[36:37]
	v_add_f64 v[12:13], v[26:27], -v[12:13]
	v_fma_f64 v[8:9], v[22:23], s[20:21], -v[24:25]
	v_add_f64 v[36:37], v[36:37], -v[14:15]
	v_mul_f64 v[28:29], v[28:29], s[18:19]
	v_mul_f64 v[46:47], v[6:7], s[16:17]
	;; [unrolled: 1-line block ×4, first 2 shown]
	v_add_f64 v[26:27], v[40:41], -v[34:35]
	v_add_f64 v[24:25], v[8:9], v[16:17]
	v_mul_f64 v[8:9], v[36:37], s[2:3]
	v_fma_f64 v[30:31], s[28:29], v[20:21], v[28:29]
	v_fma_f64 v[6:7], s[16:17], v[6:7], v[50:51]
	;; [unrolled: 1-line block ×3, first 2 shown]
	v_add_f64 v[44:45], v[4:5], v[14:15]
	v_fma_f64 v[20:21], v[20:21], s[24:25], -v[10:11]
	v_fma_f64 v[10:11], v[26:27], s[20:21], -v[50:51]
	v_fma_f64 v[32:33], v[32:33], s[24:25], -v[8:9]
	v_fma_f64 v[14:15], v[26:27], s[10:11], -v[46:47]
	v_fma_f64 v[28:29], v[12:13], s[2:3], -v[28:29]
	v_fma_f64 v[12:13], v[22:23], s[10:11], -v[54:55]
	v_fma_f64 v[22:23], v[36:37], s[2:3], -v[38:39]
	v_fmac_f64_e32 v[30:31], s[22:23], v[18:19]
	v_add_f64 v[52:53], v[6:7], v[48:49]
	v_fmac_f64_e32 v[42:43], s[22:23], v[44:45]
	v_fmac_f64_e32 v[20:21], s[22:23], v[18:19]
	v_add_f64 v[34:35], v[10:11], v[48:49]
	v_fmac_f64_e32 v[32:33], s[22:23], v[44:45]
	v_add_f64 v[26:27], v[14:15], v[48:49]
	;; [unrolled: 2-line block ×4, first 2 shown]
	v_add_f64 v[4:5], v[56:57], -v[42:43]
	v_add_f64 v[10:11], v[20:21], v[34:35]
	v_add_f64 v[8:9], v[24:25], -v[32:33]
	v_add_f64 v[14:15], v[26:27], -v[28:29]
	v_add_f64 v[12:13], v[22:23], v[16:17]
	v_add_f64 v[18:19], v[28:29], v[26:27]
	v_add_f64 v[16:17], v[16:17], -v[22:23]
	v_add_f64 v[22:23], v[34:35], -v[20:21]
	v_add_f64 v[20:21], v[32:33], v[24:25]
	v_add_f64 v[26:27], v[52:53], -v[30:31]
	v_add_f64 v[24:25], v[42:43], v[56:57]
	ds_write_b128 v98, v[0:3] offset:22848
	ds_write_b128 v98, v[24:27] offset:23936
	;; [unrolled: 1-line block ×7, first 2 shown]
.LBB0_21:
	s_or_b64 exec, exec, s[30:31]
	s_waitcnt lgkmcnt(0)
	s_barrier
	ds_read_b128 v[0:3], v80
	ds_read_b128 v[4:7], v80 offset:1904
	ds_read_b128 v[8:11], v80 offset:7616
	;; [unrolled: 1-line block ×15, first 2 shown]
	s_waitcnt lgkmcnt(13)
	v_mul_f64 v[64:65], v[154:155], v[10:11]
	v_fmac_f64_e32 v[64:65], v[152:153], v[8:9]
	v_mul_f64 v[8:9], v[154:155], v[8:9]
	v_fma_f64 v[8:9], v[152:153], v[10:11], -v[8:9]
	s_waitcnt lgkmcnt(11)
	v_mul_f64 v[10:11], v[158:159], v[18:19]
	v_fmac_f64_e32 v[10:11], v[156:157], v[16:17]
	v_mul_f64 v[16:17], v[158:159], v[16:17]
	v_fma_f64 v[16:17], v[156:157], v[18:19], -v[16:17]
	;; [unrolled: 5-line block ×3, first 2 shown]
	v_mul_f64 v[26:27], v[170:171], v[14:15]
	v_fmac_f64_e32 v[26:27], v[168:169], v[12:13]
	v_mul_f64 v[12:13], v[170:171], v[12:13]
	v_fma_f64 v[66:67], v[168:169], v[14:15], -v[12:13]
	v_mul_f64 v[68:69], v[174:175], v[22:23]
	v_mul_f64 v[12:13], v[174:175], v[20:21]
	v_fmac_f64_e32 v[68:69], v[172:173], v[20:21]
	v_fma_f64 v[20:21], v[172:173], v[22:23], -v[12:13]
	s_waitcnt lgkmcnt(8)
	v_mul_f64 v[22:23], v[166:167], v[30:31]
	v_mul_f64 v[12:13], v[166:167], v[28:29]
	v_fmac_f64_e32 v[22:23], v[164:165], v[28:29]
	v_fma_f64 v[28:29], v[164:165], v[30:31], -v[12:13]
	s_waitcnt lgkmcnt(5)
	;; [unrolled: 5-line block ×4, first 2 shown]
	v_mul_f64 v[50:51], v[178:179], v[58:59]
	v_mul_f64 v[12:13], v[178:179], v[56:57]
	v_fmac_f64_e32 v[50:51], v[176:177], v[56:57]
	v_fma_f64 v[56:57], v[176:177], v[58:59], -v[12:13]
	v_mul_f64 v[12:13], v[194:195], v[44:45]
	v_mul_f64 v[58:59], v[194:195], v[46:47]
	v_fma_f64 v[72:73], v[192:193], v[46:47], -v[12:13]
	v_mul_f64 v[74:75], v[198:199], v[54:55]
	v_mul_f64 v[12:13], v[198:199], v[52:53]
	v_fmac_f64_e32 v[58:59], v[192:193], v[44:45]
	v_fmac_f64_e32 v[74:75], v[196:197], v[52:53]
	v_fma_f64 v[52:53], v[196:197], v[54:55], -v[12:13]
	s_waitcnt lgkmcnt(0)
	v_mul_f64 v[54:55], v[190:191], v[62:63]
	v_mul_f64 v[12:13], v[190:191], v[60:61]
	v_add_f64 v[30:31], v[0:1], -v[10:11]
	v_add_f64 v[44:45], v[2:3], -v[16:17]
	v_add_f64 v[14:15], v[64:65], -v[18:19]
	v_add_f64 v[16:17], v[8:9], -v[24:25]
	v_fmac_f64_e32 v[54:55], v[188:189], v[60:61]
	v_fma_f64 v[60:61], v[188:189], v[62:63], -v[12:13]
	v_fma_f64 v[10:11], v[0:1], 2.0, -v[30:31]
	v_fma_f64 v[12:13], v[2:3], 2.0, -v[44:45]
	;; [unrolled: 1-line block ×4, first 2 shown]
	v_add_f64 v[14:15], v[44:45], -v[14:15]
	v_add_f64 v[0:1], v[10:11], -v[0:1]
	;; [unrolled: 1-line block ×3, first 2 shown]
	v_fma_f64 v[18:19], v[44:45], 2.0, -v[14:15]
	v_add_f64 v[44:45], v[6:7], -v[20:21]
	v_add_f64 v[28:29], v[66:67], -v[28:29]
	v_fma_f64 v[8:9], v[10:11], 2.0, -v[0:1]
	v_fma_f64 v[10:11], v[12:13], 2.0, -v[2:3]
	v_add_f64 v[12:13], v[30:31], v[16:17]
	v_fma_f64 v[24:25], v[6:7], 2.0, -v[44:45]
	v_fma_f64 v[6:7], v[66:67], 2.0, -v[28:29]
	;; [unrolled: 1-line block ×3, first 2 shown]
	v_add_f64 v[30:31], v[4:5], -v[68:69]
	v_add_f64 v[46:47], v[26:27], -v[22:23]
	;; [unrolled: 1-line block ×3, first 2 shown]
	v_fma_f64 v[20:21], v[4:5], 2.0, -v[30:31]
	v_fma_f64 v[4:5], v[26:27], 2.0, -v[46:47]
	;; [unrolled: 1-line block ×3, first 2 shown]
	v_add_f64 v[24:25], v[30:31], v[28:29]
	v_add_f64 v[26:27], v[44:45], -v[46:47]
	v_add_f64 v[62:63], v[32:33], -v[42:43]
	;; [unrolled: 1-line block ×5, first 2 shown]
	v_fma_f64 v[28:29], v[30:31], 2.0, -v[24:25]
	v_fma_f64 v[30:31], v[44:45], 2.0, -v[26:27]
	;; [unrolled: 1-line block ×6, first 2 shown]
	v_add_f64 v[32:33], v[42:43], -v[32:33]
	v_add_f64 v[34:35], v[44:45], -v[34:35]
	v_add_f64 v[46:47], v[64:65], -v[46:47]
	v_fma_f64 v[40:41], v[42:43], 2.0, -v[32:33]
	v_fma_f64 v[42:43], v[44:45], 2.0, -v[34:35]
	v_add_f64 v[44:45], v[62:63], v[48:49]
	v_fma_f64 v[50:51], v[64:65], 2.0, -v[46:47]
	v_add_f64 v[64:65], v[38:39], -v[52:53]
	v_add_f64 v[60:61], v[72:73], -v[60:61]
	v_fma_f64 v[48:49], v[62:63], 2.0, -v[44:45]
	v_add_f64 v[62:63], v[36:37], -v[74:75]
	v_fma_f64 v[56:57], v[38:39], 2.0, -v[64:65]
	;; [unrolled: 2-line block ×3, first 2 shown]
	v_fma_f64 v[52:53], v[36:37], 2.0, -v[62:63]
	v_fma_f64 v[36:37], v[58:59], 2.0, -v[66:67]
	v_add_f64 v[38:39], v[56:57], -v[38:39]
	v_add_f64 v[4:5], v[20:21], -v[4:5]
	;; [unrolled: 1-line block ×3, first 2 shown]
	v_fma_f64 v[54:55], v[56:57], 2.0, -v[38:39]
	v_add_f64 v[56:57], v[62:63], v[60:61]
	v_add_f64 v[58:59], v[64:65], -v[66:67]
	v_fma_f64 v[20:21], v[20:21], 2.0, -v[4:5]
	v_fma_f64 v[52:53], v[52:53], 2.0, -v[36:37]
	;; [unrolled: 1-line block ×4, first 2 shown]
	ds_write_b128 v80, v[8:11]
	ds_write_b128 v80, v[16:19] offset:7616
	ds_write_b128 v80, v[0:3] offset:15232
	;; [unrolled: 1-line block ×15, first 2 shown]
	s_waitcnt lgkmcnt(0)
	s_barrier
	s_and_b64 exec, exec, vcc
	s_cbranch_execz .LBB0_23
; %bb.22:
	global_load_dwordx4 v[0:3], v76, s[8:9]
	v_accvgpr_read_b32 v26, a0
	v_mad_u64_u32 v[14:15], s[0:1], s6, v26, 0
	v_mad_u64_u32 v[16:17], s[2:3], s4, v126, 0
	v_mov_b32_e32 v22, v15
	ds_read_b128 v[4:7], v80
	ds_read_b128 v[8:11], v76 offset:1792
	ds_read_b128 v[18:21], v76 offset:28672
	v_mov_b32_e32 v24, v17
	v_mad_u64_u32 v[22:23], s[2:3], s7, v26, v[22:23]
	v_mov_b32_e32 v12, s12
	v_mov_b32_e32 v13, s13
	v_mad_u64_u32 v[24:25], s[2:3], s5, v126, v[24:25]
	v_mov_b32_e32 v15, v22
	v_mov_b32_e32 v17, v24
	v_lshl_add_u64 v[12:13], v[14:15], 4, v[12:13]
	s_mov_b32 s0, 0x1135c811
	v_lshl_add_u64 v[14:15], v[16:17], 4, v[12:13]
	s_mov_b32 s1, 0x3f4135c8
	v_mov_b32_e32 v28, 0x700
	s_mul_i32 s6, s5, 0x700
	v_mov_b32_e32 v77, 0
	v_or_b32_e32 v27, 0x380, v126
	s_mul_i32 s7, s5, 0xe00
	s_waitcnt vmcnt(0) lgkmcnt(2)
	v_mul_f64 v[16:17], v[6:7], v[2:3]
	v_mul_f64 v[2:3], v[4:5], v[2:3]
	v_fmac_f64_e32 v[16:17], v[4:5], v[0:1]
	v_fma_f64 v[2:3], v[0:1], v[6:7], -v[2:3]
	v_mul_f64 v[0:1], v[16:17], s[0:1]
	v_mul_f64 v[2:3], v[2:3], s[0:1]
	global_store_dwordx4 v[14:15], v[0:3], off
	global_load_dwordx4 v[0:3], v76, s[8:9] offset:1792
	v_mad_u64_u32 v[14:15], s[2:3], s4, v28, v[14:15]
	v_add_u32_e32 v15, s6, v15
	s_movk_i32 s2, 0x1000
	v_lshl_add_u64 v[16:17], s[8:9], 0, v[76:77]
	v_add_co_u32_e32 v22, vcc, s2, v16
	s_waitcnt vmcnt(0) lgkmcnt(1)
	v_mul_f64 v[4:5], v[10:11], v[2:3]
	v_mul_f64 v[2:3], v[8:9], v[2:3]
	v_fmac_f64_e32 v[4:5], v[8:9], v[0:1]
	v_fma_f64 v[2:3], v[0:1], v[10:11], -v[2:3]
	v_mul_f64 v[0:1], v[4:5], s[0:1]
	v_mul_f64 v[2:3], v[2:3], s[0:1]
	global_store_dwordx4 v[14:15], v[0:3], off
	global_load_dwordx4 v[0:3], v76, s[8:9] offset:3584
	ds_read_b128 v[4:7], v76 offset:3584
	ds_read_b128 v[8:11], v76 offset:5376
	v_mad_u64_u32 v[14:15], s[2:3], s4, v28, v[14:15]
	v_add_u32_e32 v15, s6, v15
	v_addc_co_u32_e32 v23, vcc, 0, v17, vcc
	s_waitcnt vmcnt(0) lgkmcnt(1)
	v_mul_f64 v[24:25], v[6:7], v[2:3]
	v_mul_f64 v[2:3], v[4:5], v[2:3]
	v_fmac_f64_e32 v[24:25], v[4:5], v[0:1]
	v_fma_f64 v[2:3], v[0:1], v[6:7], -v[2:3]
	v_mul_f64 v[0:1], v[24:25], s[0:1]
	v_mul_f64 v[2:3], v[2:3], s[0:1]
	global_store_dwordx4 v[14:15], v[0:3], off
	global_load_dwordx4 v[0:3], v[22:23], off offset:1280
	v_mad_u64_u32 v[14:15], s[2:3], s4, v28, v[14:15]
	v_add_u32_e32 v15, s6, v15
	s_movk_i32 s2, 0x2000
	s_waitcnt vmcnt(0) lgkmcnt(0)
	v_mul_f64 v[4:5], v[10:11], v[2:3]
	v_mul_f64 v[2:3], v[8:9], v[2:3]
	v_fmac_f64_e32 v[4:5], v[8:9], v[0:1]
	v_fma_f64 v[2:3], v[0:1], v[10:11], -v[2:3]
	v_mul_f64 v[0:1], v[4:5], s[0:1]
	v_mul_f64 v[2:3], v[2:3], s[0:1]
	global_store_dwordx4 v[14:15], v[0:3], off
	global_load_dwordx4 v[0:3], v[22:23], off offset:3072
	ds_read_b128 v[4:7], v76 offset:7168
	ds_read_b128 v[8:11], v76 offset:8960
	v_add_co_u32_e32 v22, vcc, s2, v16
	v_mad_u64_u32 v[14:15], s[2:3], s4, v28, v[14:15]
	v_add_u32_e32 v15, s6, v15
	v_addc_co_u32_e32 v23, vcc, 0, v17, vcc
	s_waitcnt vmcnt(0) lgkmcnt(1)
	v_mul_f64 v[24:25], v[6:7], v[2:3]
	v_mul_f64 v[2:3], v[4:5], v[2:3]
	v_fmac_f64_e32 v[24:25], v[4:5], v[0:1]
	v_fma_f64 v[2:3], v[0:1], v[6:7], -v[2:3]
	v_mul_f64 v[0:1], v[24:25], s[0:1]
	v_mul_f64 v[2:3], v[2:3], s[0:1]
	global_store_dwordx4 v[14:15], v[0:3], off
	global_load_dwordx4 v[0:3], v[22:23], off offset:768
	v_mad_u64_u32 v[14:15], s[2:3], s4, v28, v[14:15]
	v_add_u32_e32 v15, s6, v15
	s_movk_i32 s2, 0x3000
	s_waitcnt vmcnt(0) lgkmcnt(0)
	v_mul_f64 v[4:5], v[10:11], v[2:3]
	v_mul_f64 v[2:3], v[8:9], v[2:3]
	v_fmac_f64_e32 v[4:5], v[8:9], v[0:1]
	v_fma_f64 v[2:3], v[0:1], v[10:11], -v[2:3]
	v_mul_f64 v[0:1], v[4:5], s[0:1]
	v_mul_f64 v[2:3], v[2:3], s[0:1]
	global_store_dwordx4 v[14:15], v[0:3], off
	global_load_dwordx4 v[0:3], v[22:23], off offset:2560
	ds_read_b128 v[4:7], v76 offset:10752
	ds_read_b128 v[8:11], v76 offset:12544
	v_add_co_u32_e32 v22, vcc, s2, v16
	v_mad_u64_u32 v[14:15], s[2:3], s4, v28, v[14:15]
	v_add_u32_e32 v15, s6, v15
	v_addc_co_u32_e32 v23, vcc, 0, v17, vcc
	s_waitcnt vmcnt(0) lgkmcnt(1)
	v_mul_f64 v[24:25], v[6:7], v[2:3]
	v_mul_f64 v[2:3], v[4:5], v[2:3]
	v_fmac_f64_e32 v[24:25], v[4:5], v[0:1]
	v_fma_f64 v[2:3], v[0:1], v[6:7], -v[2:3]
	v_mul_f64 v[0:1], v[24:25], s[0:1]
	v_mul_f64 v[2:3], v[2:3], s[0:1]
	global_store_dwordx4 v[14:15], v[0:3], off
	global_load_dwordx4 v[0:3], v[22:23], off offset:256
	v_mad_u64_u32 v[14:15], s[2:3], s4, v28, v[14:15]
	v_add_u32_e32 v15, s6, v15
	v_lshlrev_b32_e32 v6, 4, v27
	v_mad_u64_u32 v[24:25], s[2:3], s4, v27, 0
	v_mov_b32_e32 v26, v25
	v_mad_u64_u32 v[26:27], s[2:3], s5, v27, v[26:27]
	v_mov_b32_e32 v25, v26
	v_lshl_add_u64 v[24:25], v[24:25], 4, v[12:13]
	s_movk_i32 s2, 0x4000
	s_waitcnt vmcnt(0) lgkmcnt(0)
	v_mul_f64 v[4:5], v[10:11], v[2:3]
	v_mul_f64 v[2:3], v[8:9], v[2:3]
	v_fmac_f64_e32 v[4:5], v[8:9], v[0:1]
	v_fma_f64 v[2:3], v[0:1], v[10:11], -v[2:3]
	v_mul_f64 v[0:1], v[4:5], s[0:1]
	v_mul_f64 v[2:3], v[2:3], s[0:1]
	global_store_dwordx4 v[14:15], v[0:3], off
	global_load_dwordx4 v[0:3], v6, s[8:9]
	ds_read_b128 v[4:7], v76 offset:14336
	ds_read_b128 v[8:11], v76 offset:16128
	s_waitcnt vmcnt(0) lgkmcnt(1)
	v_mul_f64 v[26:27], v[6:7], v[2:3]
	v_mul_f64 v[2:3], v[4:5], v[2:3]
	v_fmac_f64_e32 v[26:27], v[4:5], v[0:1]
	v_fma_f64 v[2:3], v[0:1], v[6:7], -v[2:3]
	v_mul_f64 v[0:1], v[26:27], s[0:1]
	v_mul_f64 v[2:3], v[2:3], s[0:1]
	global_store_dwordx4 v[24:25], v[0:3], off
	global_load_dwordx4 v[0:3], v[22:23], off offset:3840
	v_mov_b32_e32 v4, 0xe00
	v_add_co_u32_e32 v22, vcc, s2, v16
	v_mad_u64_u32 v[14:15], s[2:3], s4, v4, v[14:15]
	v_add_u32_e32 v15, s7, v15
	v_addc_co_u32_e32 v23, vcc, 0, v17, vcc
	s_waitcnt vmcnt(0) lgkmcnt(0)
	v_mul_f64 v[4:5], v[10:11], v[2:3]
	v_mul_f64 v[2:3], v[8:9], v[2:3]
	v_fmac_f64_e32 v[4:5], v[8:9], v[0:1]
	v_fma_f64 v[2:3], v[0:1], v[10:11], -v[2:3]
	v_mul_f64 v[0:1], v[4:5], s[0:1]
	v_mul_f64 v[2:3], v[2:3], s[0:1]
	global_store_dwordx4 v[14:15], v[0:3], off
	global_load_dwordx4 v[0:3], v[22:23], off offset:1536
	ds_read_b128 v[4:7], v76 offset:17920
	ds_read_b128 v[8:11], v76 offset:19712
	v_mad_u64_u32 v[14:15], s[2:3], s4, v28, v[14:15]
	v_add_u32_e32 v15, s6, v15
	s_movk_i32 s2, 0x5000
	s_waitcnt vmcnt(0) lgkmcnt(1)
	v_mul_f64 v[24:25], v[6:7], v[2:3]
	v_mul_f64 v[2:3], v[4:5], v[2:3]
	v_fmac_f64_e32 v[24:25], v[4:5], v[0:1]
	v_fma_f64 v[2:3], v[0:1], v[6:7], -v[2:3]
	v_mul_f64 v[0:1], v[24:25], s[0:1]
	v_mul_f64 v[2:3], v[2:3], s[0:1]
	global_store_dwordx4 v[14:15], v[0:3], off
	global_load_dwordx4 v[0:3], v[22:23], off offset:3328
	v_add_co_u32_e32 v22, vcc, s2, v16
	v_mad_u64_u32 v[14:15], s[2:3], s4, v28, v[14:15]
	v_add_u32_e32 v15, s6, v15
	v_addc_co_u32_e32 v23, vcc, 0, v17, vcc
	s_waitcnt vmcnt(0) lgkmcnt(0)
	v_mul_f64 v[4:5], v[10:11], v[2:3]
	v_mul_f64 v[2:3], v[8:9], v[2:3]
	v_fmac_f64_e32 v[4:5], v[8:9], v[0:1]
	v_fma_f64 v[2:3], v[0:1], v[10:11], -v[2:3]
	v_mul_f64 v[0:1], v[4:5], s[0:1]
	v_mul_f64 v[2:3], v[2:3], s[0:1]
	global_store_dwordx4 v[14:15], v[0:3], off
	global_load_dwordx4 v[0:3], v[22:23], off offset:1024
	ds_read_b128 v[4:7], v76 offset:21504
	ds_read_b128 v[8:11], v76 offset:23296
	v_mad_u64_u32 v[14:15], s[2:3], s4, v28, v[14:15]
	v_add_u32_e32 v15, s6, v15
	s_movk_i32 s2, 0x6000
	v_add_co_u32_e32 v16, vcc, s2, v16
	s_waitcnt vmcnt(0) lgkmcnt(1)
	v_mul_f64 v[24:25], v[6:7], v[2:3]
	v_mul_f64 v[2:3], v[4:5], v[2:3]
	v_fmac_f64_e32 v[24:25], v[4:5], v[0:1]
	v_fma_f64 v[2:3], v[0:1], v[6:7], -v[2:3]
	v_mul_f64 v[0:1], v[24:25], s[0:1]
	v_mul_f64 v[2:3], v[2:3], s[0:1]
	global_store_dwordx4 v[14:15], v[0:3], off
	global_load_dwordx4 v[0:3], v[22:23], off offset:2816
	v_mad_u64_u32 v[14:15], s[2:3], s4, v28, v[14:15]
	v_add_u32_e32 v15, s6, v15
	v_addc_co_u32_e32 v17, vcc, 0, v17, vcc
	s_waitcnt vmcnt(0) lgkmcnt(0)
	v_mul_f64 v[4:5], v[10:11], v[2:3]
	v_mul_f64 v[2:3], v[8:9], v[2:3]
	v_fmac_f64_e32 v[4:5], v[8:9], v[0:1]
	v_fma_f64 v[2:3], v[0:1], v[10:11], -v[2:3]
	v_mul_f64 v[0:1], v[4:5], s[0:1]
	v_mul_f64 v[2:3], v[2:3], s[0:1]
	global_store_dwordx4 v[14:15], v[0:3], off
	global_load_dwordx4 v[0:3], v[16:17], off offset:512
	ds_read_b128 v[4:7], v76 offset:25088
	ds_read_b128 v[8:11], v76 offset:26880
	v_mad_u64_u32 v[14:15], s[2:3], s4, v28, v[14:15]
	v_add_u32_e32 v15, s6, v15
	s_waitcnt vmcnt(0) lgkmcnt(1)
	v_mul_f64 v[22:23], v[6:7], v[2:3]
	v_mul_f64 v[2:3], v[4:5], v[2:3]
	v_fmac_f64_e32 v[22:23], v[4:5], v[0:1]
	v_fma_f64 v[2:3], v[0:1], v[6:7], -v[2:3]
	v_mul_f64 v[0:1], v[22:23], s[0:1]
	v_mul_f64 v[2:3], v[2:3], s[0:1]
	global_store_dwordx4 v[14:15], v[0:3], off
	global_load_dwordx4 v[0:3], v[16:17], off offset:2304
	v_mad_u64_u32 v[4:5], s[2:3], s4, v28, v[14:15]
	v_or_b32_e32 v16, 0x700, v126
	v_add_u32_e32 v5, s6, v5
	v_lshlrev_b32_e32 v17, 4, v16
	s_waitcnt vmcnt(0) lgkmcnt(0)
	v_mul_f64 v[6:7], v[10:11], v[2:3]
	v_mul_f64 v[2:3], v[8:9], v[2:3]
	v_fmac_f64_e32 v[6:7], v[8:9], v[0:1]
	v_fma_f64 v[2:3], v[0:1], v[10:11], -v[2:3]
	v_mul_f64 v[0:1], v[6:7], s[0:1]
	v_mul_f64 v[2:3], v[2:3], s[0:1]
	global_store_dwordx4 v[4:5], v[0:3], off
	global_load_dwordx4 v[0:3], v17, s[8:9]
	v_mad_u64_u32 v[4:5], s[2:3], s4, v16, 0
	v_mov_b32_e32 v6, v5
	v_mad_u64_u32 v[6:7], s[2:3], s5, v16, v[6:7]
	v_mov_b32_e32 v5, v6
	v_lshl_add_u64 v[4:5], v[4:5], 4, v[12:13]
	s_waitcnt vmcnt(0)
	v_mul_f64 v[6:7], v[20:21], v[2:3]
	v_mul_f64 v[2:3], v[18:19], v[2:3]
	v_fmac_f64_e32 v[6:7], v[18:19], v[0:1]
	v_fma_f64 v[2:3], v[0:1], v[20:21], -v[2:3]
	v_mul_f64 v[0:1], v[6:7], s[0:1]
	v_mul_f64 v[2:3], v[2:3], s[0:1]
	global_store_dwordx4 v[4:5], v[0:3], off
.LBB0_23:
	s_endpgm
	.section	.rodata,"a",@progbits
	.p2align	6, 0x0
	.amdhsa_kernel bluestein_single_back_len1904_dim1_dp_op_CI_CI
		.amdhsa_group_segment_fixed_size 30464
		.amdhsa_private_segment_fixed_size 0
		.amdhsa_kernarg_size 104
		.amdhsa_user_sgpr_count 2
		.amdhsa_user_sgpr_dispatch_ptr 0
		.amdhsa_user_sgpr_queue_ptr 0
		.amdhsa_user_sgpr_kernarg_segment_ptr 1
		.amdhsa_user_sgpr_dispatch_id 0
		.amdhsa_user_sgpr_kernarg_preload_length 0
		.amdhsa_user_sgpr_kernarg_preload_offset 0
		.amdhsa_user_sgpr_private_segment_size 0
		.amdhsa_uses_dynamic_stack 0
		.amdhsa_enable_private_segment 0
		.amdhsa_system_sgpr_workgroup_id_x 1
		.amdhsa_system_sgpr_workgroup_id_y 0
		.amdhsa_system_sgpr_workgroup_id_z 0
		.amdhsa_system_sgpr_workgroup_info 0
		.amdhsa_system_vgpr_workitem_id 0
		.amdhsa_next_free_vgpr 472
		.amdhsa_next_free_sgpr 60
		.amdhsa_accum_offset 256
		.amdhsa_reserve_vcc 1
		.amdhsa_float_round_mode_32 0
		.amdhsa_float_round_mode_16_64 0
		.amdhsa_float_denorm_mode_32 3
		.amdhsa_float_denorm_mode_16_64 3
		.amdhsa_dx10_clamp 1
		.amdhsa_ieee_mode 1
		.amdhsa_fp16_overflow 0
		.amdhsa_tg_split 0
		.amdhsa_exception_fp_ieee_invalid_op 0
		.amdhsa_exception_fp_denorm_src 0
		.amdhsa_exception_fp_ieee_div_zero 0
		.amdhsa_exception_fp_ieee_overflow 0
		.amdhsa_exception_fp_ieee_underflow 0
		.amdhsa_exception_fp_ieee_inexact 0
		.amdhsa_exception_int_div_zero 0
	.end_amdhsa_kernel
	.text
.Lfunc_end0:
	.size	bluestein_single_back_len1904_dim1_dp_op_CI_CI, .Lfunc_end0-bluestein_single_back_len1904_dim1_dp_op_CI_CI
                                        ; -- End function
	.section	.AMDGPU.csdata,"",@progbits
; Kernel info:
; codeLenInByte = 32860
; NumSgprs: 66
; NumVgprs: 256
; NumAgprs: 216
; TotalNumVgprs: 472
; ScratchSize: 0
; MemoryBound: 0
; FloatMode: 240
; IeeeMode: 1
; LDSByteSize: 30464 bytes/workgroup (compile time only)
; SGPRBlocks: 8
; VGPRBlocks: 58
; NumSGPRsForWavesPerEU: 66
; NumVGPRsForWavesPerEU: 472
; AccumOffset: 256
; Occupancy: 1
; WaveLimiterHint : 1
; COMPUTE_PGM_RSRC2:SCRATCH_EN: 0
; COMPUTE_PGM_RSRC2:USER_SGPR: 2
; COMPUTE_PGM_RSRC2:TRAP_HANDLER: 0
; COMPUTE_PGM_RSRC2:TGID_X_EN: 1
; COMPUTE_PGM_RSRC2:TGID_Y_EN: 0
; COMPUTE_PGM_RSRC2:TGID_Z_EN: 0
; COMPUTE_PGM_RSRC2:TIDIG_COMP_CNT: 0
; COMPUTE_PGM_RSRC3_GFX90A:ACCUM_OFFSET: 63
; COMPUTE_PGM_RSRC3_GFX90A:TG_SPLIT: 0
	.text
	.p2alignl 6, 3212836864
	.fill 256, 4, 3212836864
	.type	__hip_cuid_ea0b7e35fda325f2,@object ; @__hip_cuid_ea0b7e35fda325f2
	.section	.bss,"aw",@nobits
	.globl	__hip_cuid_ea0b7e35fda325f2
__hip_cuid_ea0b7e35fda325f2:
	.byte	0                               ; 0x0
	.size	__hip_cuid_ea0b7e35fda325f2, 1

	.ident	"AMD clang version 19.0.0git (https://github.com/RadeonOpenCompute/llvm-project roc-6.4.0 25133 c7fe45cf4b819c5991fe208aaa96edf142730f1d)"
	.section	".note.GNU-stack","",@progbits
	.addrsig
	.addrsig_sym __hip_cuid_ea0b7e35fda325f2
	.amdgpu_metadata
---
amdhsa.kernels:
  - .agpr_count:     216
    .args:
      - .actual_access:  read_only
        .address_space:  global
        .offset:         0
        .size:           8
        .value_kind:     global_buffer
      - .actual_access:  read_only
        .address_space:  global
        .offset:         8
        .size:           8
        .value_kind:     global_buffer
      - .actual_access:  read_only
        .address_space:  global
        .offset:         16
        .size:           8
        .value_kind:     global_buffer
      - .actual_access:  read_only
        .address_space:  global
        .offset:         24
        .size:           8
        .value_kind:     global_buffer
      - .actual_access:  read_only
        .address_space:  global
        .offset:         32
        .size:           8
        .value_kind:     global_buffer
      - .offset:         40
        .size:           8
        .value_kind:     by_value
      - .address_space:  global
        .offset:         48
        .size:           8
        .value_kind:     global_buffer
      - .address_space:  global
        .offset:         56
        .size:           8
        .value_kind:     global_buffer
      - .address_space:  global
        .offset:         64
        .size:           8
        .value_kind:     global_buffer
      - .address_space:  global
        .offset:         72
        .size:           8
        .value_kind:     global_buffer
      - .offset:         80
        .size:           4
        .value_kind:     by_value
      - .address_space:  global
        .offset:         88
        .size:           8
        .value_kind:     global_buffer
      - .address_space:  global
        .offset:         96
        .size:           8
        .value_kind:     global_buffer
    .group_segment_fixed_size: 30464
    .kernarg_segment_align: 8
    .kernarg_segment_size: 104
    .language:       OpenCL C
    .language_version:
      - 2
      - 0
    .max_flat_workgroup_size: 119
    .name:           bluestein_single_back_len1904_dim1_dp_op_CI_CI
    .private_segment_fixed_size: 0
    .sgpr_count:     66
    .sgpr_spill_count: 0
    .symbol:         bluestein_single_back_len1904_dim1_dp_op_CI_CI.kd
    .uniform_work_group_size: 1
    .uses_dynamic_stack: false
    .vgpr_count:     472
    .vgpr_spill_count: 0
    .wavefront_size: 64
amdhsa.target:   amdgcn-amd-amdhsa--gfx950
amdhsa.version:
  - 1
  - 2
...

	.end_amdgpu_metadata
